;; amdgpu-corpus repo=ROCm/rocFFT kind=compiled arch=gfx950 opt=O3
	.text
	.amdgcn_target "amdgcn-amd-amdhsa--gfx950"
	.amdhsa_code_object_version 6
	.protected	bluestein_single_fwd_len880_dim1_dp_op_CI_CI ; -- Begin function bluestein_single_fwd_len880_dim1_dp_op_CI_CI
	.globl	bluestein_single_fwd_len880_dim1_dp_op_CI_CI
	.p2align	8
	.type	bluestein_single_fwd_len880_dim1_dp_op_CI_CI,@function
bluestein_single_fwd_len880_dim1_dp_op_CI_CI: ; @bluestein_single_fwd_len880_dim1_dp_op_CI_CI
; %bb.0:
	s_load_dwordx4 s[16:19], s[0:1], 0x28
	v_mul_u32_u24_e32 v1, 0x2e9, v0
	v_lshrrev_b32_e32 v50, 16, v1
	v_mov_b32_e32 v157, 0
	v_lshl_add_u32 v158, s2, 1, v50
	v_mov_b32_e32 v159, v157
	s_waitcnt lgkmcnt(0)
	v_cmp_gt_u64_e32 vcc, s[16:17], v[158:159]
	s_and_saveexec_b64 s[2:3], vcc
	s_cbranch_execz .LBB0_10
; %bb.1:
	s_load_dwordx4 s[4:7], s[0:1], 0x18
	s_load_dwordx4 s[8:11], s[0:1], 0x0
	v_mul_lo_u16_e32 v1, 0x58, v50
	v_sub_u16_e32 v156, v0, v1
	v_mov_b32_e32 v2, s18
	s_waitcnt lgkmcnt(0)
	s_load_dwordx4 s[12:15], s[4:5], 0x0
	v_mov_b32_e32 v3, s19
	v_lshlrev_b32_e32 v48, 4, v156
	v_mov_b32_e32 v49, v157
	v_lshl_add_u64 v[36:37], s[8:9], 0, v[48:49]
	s_waitcnt lgkmcnt(0)
	v_mad_u64_u32 v[0:1], s[2:3], s14, v158, 0
	v_mov_b32_e32 v4, v1
	v_mad_u64_u32 v[4:5], s[2:3], s15, v158, v[4:5]
	v_mov_b32_e32 v1, v4
	;; [unrolled: 2-line block ×4, first 2 shown]
	v_lshl_add_u64 v[0:1], v[0:1], 4, v[2:3]
	v_lshl_add_u64 v[0:1], v[4:5], 4, v[0:1]
	v_mov_b32_e32 v2, 0x1b80
	v_mad_u64_u32 v[8:9], s[2:3], s12, v2, v[0:1]
	s_mul_i32 s2, s13, 0x1b80
	s_movk_i32 s3, 0x1000
	global_load_dwordx4 v[40:43], v[0:1], off
	v_add_u32_e32 v9, s2, v9
	v_add_co_u32_e32 v38, vcc, s3, v36
	v_mov_b32_e32 v0, 0xffffea00
	s_mul_i32 s3, s13, 0xffffea00
	global_load_dwordx4 v[24:27], v48, s[8:9]
	v_mad_u64_u32 v[10:11], s[4:5], s12, v0, v[8:9]
	s_sub_i32 s3, s3, s12
	v_addc_co_u32_e32 v39, vcc, 0, v37, vcc
	v_add_u32_e32 v11, s3, v11
	global_load_dwordx4 v[208:211], v[38:39], off offset:2944
	v_mad_u64_u32 v[16:17], s[4:5], s12, v2, v[10:11]
	v_add_u32_e32 v17, s2, v17
	s_movk_i32 s4, 0x2000
	global_load_dwordx4 v[52:55], v[8:9], off
	global_load_dwordx4 v[44:47], v[10:11], off
	global_load_dwordx4 v[220:223], v48, s[8:9] offset:1408
	v_add_co_u32_e32 v32, vcc, s4, v36
	v_mad_u64_u32 v[18:19], s[4:5], s12, v0, v[16:17]
	s_nop 0
	v_addc_co_u32_e32 v33, vcc, 0, v37, vcc
	v_add_u32_e32 v19, s3, v19
	global_load_dwordx4 v[224:227], v[32:33], off offset:256
	global_load_dwordx4 v[56:59], v[16:17], off
	global_load_dwordx4 v[60:63], v[18:19], off
	global_load_dwordx4 v[216:219], v48, s[8:9] offset:2816
	v_mad_u64_u32 v[16:17], s[4:5], s12, v2, v[18:19]
	v_add_u32_e32 v17, s2, v17
	global_load_dwordx4 v[64:67], v[16:17], off
	v_mad_u64_u32 v[16:17], s[4:5], s12, v0, v[16:17]
	v_add_u32_e32 v17, s3, v17
	v_mad_u64_u32 v[34:35], s[4:5], s12, v2, v[16:17]
	global_load_dwordx4 v[68:71], v[16:17], off
	global_load_dwordx4 v[28:31], v[32:33], off offset:1664
	global_load_dwordx4 v[20:23], v[38:39], off offset:128
	v_add_u32_e32 v35, s2, v35
	v_mad_u64_u32 v[80:81], s[4:5], s12, v0, v[34:35]
	v_add_u32_e32 v81, s3, v81
	global_load_dwordx4 v[72:75], v[34:35], off
	global_load_dwordx4 v[16:19], v[32:33], off offset:3072
	v_mad_u64_u32 v[84:85], s[4:5], s12, v2, v[80:81]
	v_add_u32_e32 v85, s2, v85
	s_movk_i32 s2, 0x3000
	global_load_dwordx4 v[76:79], v[80:81], off
	global_load_dwordx4 v[32:35], v[38:39], off offset:1536
	v_add_co_u32_e32 v86, vcc, s2, v36
	v_and_b32_e32 v0, 1, v50
	s_nop 0
	v_addc_co_u32_e32 v87, vcc, 0, v37, vcc
	global_load_dwordx4 v[36:39], v[86:87], off offset:384
	global_load_dwordx4 v[80:83], v[84:85], off
	v_mov_b32_e32 v1, 0x370
	v_cmp_eq_u32_e32 vcc, 1, v0
	s_load_dwordx4 s[4:7], s[6:7], 0x0
	s_mov_b64 s[2:3], 0x58
	v_cndmask_b32_e32 v0, 0, v1, vcc
	v_lshlrev_b32_e32 v238, 4, v0
	v_add_u32_e32 v159, v238, v48
	v_lshl_add_u32 v228, v156, 5, v238
	v_lshl_add_u64 v[136:137], v[156:157], 0, s[2:3]
	v_and_b32_e32 v0, 1, v156
	v_lshl_add_u32 v229, v136, 5, v238
	v_lshlrev_b32_e32 v1, 4, v0
	s_movk_i32 s2, 0xfc
                                        ; implicit-def: $vgpr132_vgpr133
	s_waitcnt vmcnt(18)
	v_mul_f64 v[84:85], v[42:43], v[26:27]
	v_fmac_f64_e32 v[84:85], v[40:41], v[24:25]
	v_mul_f64 v[40:41], v[40:41], v[26:27]
	v_fma_f64 v[86:87], v[42:43], v[24:25], -v[40:41]
	ds_write_b128 v159, v[84:87]
	s_waitcnt vmcnt(16)
	v_mul_f64 v[40:41], v[54:55], v[210:211]
	v_mul_f64 v[42:43], v[52:53], v[210:211]
	v_fmac_f64_e32 v[40:41], v[52:53], v[208:209]
	v_fma_f64 v[42:43], v[54:55], v[208:209], -v[42:43]
	ds_write_b128 v159, v[40:43] offset:7040
	s_waitcnt vmcnt(14)
	v_mul_f64 v[40:41], v[46:47], v[222:223]
	v_mul_f64 v[42:43], v[44:45], v[222:223]
	v_fmac_f64_e32 v[40:41], v[44:45], v[220:221]
	v_fma_f64 v[42:43], v[46:47], v[220:221], -v[42:43]
	ds_write_b128 v159, v[40:43] offset:1408
	s_waitcnt vmcnt(12)
	v_mul_f64 v[40:41], v[58:59], v[226:227]
	v_mul_f64 v[42:43], v[56:57], v[226:227]
	v_fmac_f64_e32 v[40:41], v[56:57], v[224:225]
	v_fma_f64 v[42:43], v[58:59], v[224:225], -v[42:43]
	ds_write_b128 v159, v[40:43] offset:8448
	s_waitcnt vmcnt(10)
	v_mul_f64 v[40:41], v[62:63], v[218:219]
	v_mul_f64 v[42:43], v[60:61], v[218:219]
	v_fmac_f64_e32 v[40:41], v[60:61], v[216:217]
	v_fma_f64 v[42:43], v[62:63], v[216:217], -v[42:43]
	ds_write_b128 v159, v[40:43] offset:2816
	s_waitcnt vmcnt(7)
	v_mul_f64 v[40:41], v[66:67], v[30:31]
	v_mul_f64 v[42:43], v[64:65], v[30:31]
	v_fmac_f64_e32 v[40:41], v[64:65], v[28:29]
	v_fma_f64 v[42:43], v[66:67], v[28:29], -v[42:43]
	ds_write_b128 v159, v[40:43] offset:9856
	s_waitcnt vmcnt(6)
	v_mul_f64 v[40:41], v[70:71], v[22:23]
	v_mul_f64 v[42:43], v[68:69], v[22:23]
	v_fmac_f64_e32 v[40:41], v[68:69], v[20:21]
	v_fma_f64 v[42:43], v[70:71], v[20:21], -v[42:43]
	ds_write_b128 v159, v[40:43] offset:4224
	s_waitcnt vmcnt(4)
	v_mul_f64 v[40:41], v[74:75], v[18:19]
	v_mul_f64 v[42:43], v[72:73], v[18:19]
	v_fmac_f64_e32 v[40:41], v[72:73], v[16:17]
	v_fma_f64 v[42:43], v[74:75], v[16:17], -v[42:43]
	ds_write_b128 v159, v[40:43] offset:11264
	s_waitcnt vmcnt(2)
	v_mul_f64 v[40:41], v[78:79], v[34:35]
	v_mul_f64 v[42:43], v[76:77], v[34:35]
	v_fmac_f64_e32 v[40:41], v[76:77], v[32:33]
	v_fma_f64 v[42:43], v[78:79], v[32:33], -v[42:43]
	ds_write_b128 v159, v[40:43] offset:5632
	s_waitcnt vmcnt(0)
	v_mul_f64 v[40:41], v[82:83], v[38:39]
	v_mul_f64 v[42:43], v[80:81], v[38:39]
	v_fmac_f64_e32 v[40:41], v[80:81], v[36:37]
	v_fma_f64 v[42:43], v[82:83], v[36:37], -v[42:43]
	ds_write_b128 v159, v[40:43] offset:12672
	s_waitcnt lgkmcnt(0)
	s_barrier
	ds_read_b128 v[40:43], v159 offset:7040
	ds_read_b128 v[46:49], v159
	ds_read_b128 v[50:53], v159 offset:1408
	ds_read_b128 v[54:57], v159 offset:8448
	;; [unrolled: 1-line block ×8, first 2 shown]
	s_waitcnt lgkmcnt(8)
	v_add_f64 v[40:41], v[46:47], -v[40:41]
	v_add_f64 v[42:43], v[48:49], -v[42:43]
	v_lshlrev_b32_e32 v44, 1, v156
	v_fma_f64 v[46:47], v[46:47], 2.0, -v[40:41]
	v_fma_f64 v[48:49], v[48:49], 2.0, -v[42:43]
	s_waitcnt lgkmcnt(6)
	v_add_f64 v[54:55], v[50:51], -v[54:55]
	v_add_f64 v[56:57], v[52:53], -v[56:57]
	s_waitcnt lgkmcnt(4)
	v_add_f64 v[58:59], v[62:63], -v[58:59]
	v_add_f64 v[60:61], v[64:65], -v[60:61]
	;; [unrolled: 3-line block ×4, first 2 shown]
	s_barrier
	ds_write_b128 v228, v[46:49]
	ds_write_b128 v228, v[40:43] offset:16
	v_add_u32_e32 v45, 0x160, v44
	v_add_u32_e32 v46, 0x210, v44
	;; [unrolled: 1-line block ×3, first 2 shown]
	v_fma_f64 v[50:51], v[50:51], 2.0, -v[54:55]
	v_fma_f64 v[52:53], v[52:53], 2.0, -v[56:57]
	;; [unrolled: 1-line block ×8, first 2 shown]
	v_lshl_add_u32 v240, v45, 4, v238
	v_lshl_add_u32 v241, v46, 4, v238
	;; [unrolled: 1-line block ×3, first 2 shown]
	ds_write_b128 v229, v[50:53]
	ds_write_b128 v229, v[54:57] offset:16
	ds_write_b128 v240, v[62:65]
	ds_write_b128 v240, v[58:61] offset:16
	;; [unrolled: 2-line block ×4, first 2 shown]
	s_waitcnt lgkmcnt(0)
	s_barrier
	global_load_dwordx4 v[40:43], v1, s[10:11]
	ds_read_b128 v[48:51], v159 offset:7040
	ds_read_b128 v[54:57], v159
	ds_read_b128 v[58:61], v159 offset:1408
	ds_read_b128 v[62:65], v159 offset:8448
	;; [unrolled: 1-line block ×8, first 2 shown]
	v_lshlrev_b32_e32 v52, 1, v136
	v_and_or_b32 v1, v44, s2, v0
	s_movk_i32 s2, 0x1fc
	v_lshl_add_u32 v243, v1, 4, v238
	v_and_or_b32 v1, v52, s2, v0
	s_movk_i32 s2, 0x3fc
	v_lshl_add_u32 v244, v1, 4, v238
	v_and_or_b32 v1, v45, s2, v0
	v_lshl_add_u32 v245, v1, 4, v238
	v_and_or_b32 v1, v46, s2, v0
	v_and_or_b32 v0, v47, s2, v0
	v_lshl_add_u32 v247, v0, 4, v238
	v_and_b32_e32 v0, 3, v156
	v_lshl_add_u32 v246, v1, 4, v238
	v_lshlrev_b32_e32 v1, 4, v0
	s_waitcnt lgkmcnt(0)
	s_barrier
	s_movk_i32 s2, 0xf8
	s_waitcnt vmcnt(0)
	v_mul_f64 v[90:91], v[50:51], v[42:43]
	v_fma_f64 v[90:91], v[48:49], v[40:41], -v[90:91]
	v_mul_f64 v[92:93], v[48:49], v[42:43]
	v_mul_f64 v[48:49], v[64:65], v[42:43]
	v_fma_f64 v[94:95], v[62:63], v[40:41], -v[48:49]
	v_mul_f64 v[48:49], v[68:69], v[42:43]
	v_fma_f64 v[98:99], v[66:67], v[40:41], -v[48:49]
	v_mul_f64 v[48:49], v[84:85], v[42:43]
	v_mul_f64 v[96:97], v[62:63], v[42:43]
	;; [unrolled: 1-line block ×3, first 2 shown]
	v_fma_f64 v[102:103], v[82:83], v[40:41], -v[48:49]
	v_mul_f64 v[104:105], v[82:83], v[42:43]
	v_mul_f64 v[48:49], v[88:89], v[42:43]
	;; [unrolled: 1-line block ×3, first 2 shown]
	v_fmac_f64_e32 v[92:93], v[50:51], v[40:41]
	v_fmac_f64_e32 v[96:97], v[64:65], v[40:41]
	;; [unrolled: 1-line block ×4, first 2 shown]
	v_fma_f64 v[106:107], v[86:87], v[40:41], -v[48:49]
	v_fmac_f64_e32 v[108:109], v[88:89], v[40:41]
	v_add_f64 v[48:49], v[54:55], -v[90:91]
	v_add_f64 v[50:51], v[56:57], -v[92:93]
	;; [unrolled: 1-line block ×10, first 2 shown]
	v_fma_f64 v[54:55], v[54:55], 2.0, -v[48:49]
	v_fma_f64 v[56:57], v[56:57], 2.0, -v[50:51]
	;; [unrolled: 1-line block ×10, first 2 shown]
	ds_write_b128 v243, v[54:57]
	ds_write_b128 v243, v[48:51] offset:32
	ds_write_b128 v244, v[58:61]
	ds_write_b128 v244, v[62:65] offset:32
	;; [unrolled: 2-line block ×5, first 2 shown]
	s_waitcnt lgkmcnt(0)
	s_barrier
	global_load_dwordx4 v[48:51], v1, s[10:11] offset:32
	ds_read_b128 v[54:57], v159 offset:7040
	ds_read_b128 v[58:61], v159
	ds_read_b128 v[62:65], v159 offset:1408
	ds_read_b128 v[66:69], v159 offset:8448
	;; [unrolled: 1-line block ×8, first 2 shown]
	v_and_or_b32 v1, v44, s2, v0
	s_movk_i32 s2, 0x1f8
	v_lshl_add_u32 v248, v1, 4, v238
	v_and_or_b32 v1, v52, s2, v0
	s_movk_i32 s2, 0x3f8
	v_lshl_add_u32 v249, v1, 4, v238
	v_and_or_b32 v1, v45, s2, v0
	v_lshl_add_u32 v250, v1, 4, v238
	v_and_or_b32 v1, v46, s2, v0
	v_and_or_b32 v0, v47, s2, v0
	v_lshl_add_u32 v252, v0, 4, v238
	v_and_b32_e32 v0, 7, v156
	v_lshl_add_u32 v251, v1, 4, v238
	v_lshlrev_b32_e32 v1, 4, v0
	s_waitcnt lgkmcnt(0)
	s_barrier
	s_load_dwordx2 s[2:3], s[0:1], 0x38
	s_movk_i32 s0, 0xf0
	s_waitcnt vmcnt(0)
	v_mul_f64 v[94:95], v[56:57], v[50:51]
	v_fma_f64 v[94:95], v[54:55], v[48:49], -v[94:95]
	v_mul_f64 v[96:97], v[54:55], v[50:51]
	v_mul_f64 v[54:55], v[68:69], v[50:51]
	v_fma_f64 v[98:99], v[66:67], v[48:49], -v[54:55]
	v_mul_f64 v[54:55], v[72:73], v[50:51]
	v_fma_f64 v[102:103], v[70:71], v[48:49], -v[54:55]
	v_mul_f64 v[54:55], v[88:89], v[50:51]
	v_mul_f64 v[100:101], v[66:67], v[50:51]
	;; [unrolled: 1-line block ×3, first 2 shown]
	v_fma_f64 v[106:107], v[86:87], v[48:49], -v[54:55]
	v_mul_f64 v[108:109], v[86:87], v[50:51]
	v_mul_f64 v[54:55], v[92:93], v[50:51]
	;; [unrolled: 1-line block ×3, first 2 shown]
	v_fmac_f64_e32 v[96:97], v[56:57], v[48:49]
	v_fmac_f64_e32 v[100:101], v[68:69], v[48:49]
	;; [unrolled: 1-line block ×4, first 2 shown]
	v_fma_f64 v[110:111], v[90:91], v[48:49], -v[54:55]
	v_fmac_f64_e32 v[112:113], v[92:93], v[48:49]
	v_add_f64 v[54:55], v[58:59], -v[94:95]
	v_add_f64 v[56:57], v[60:61], -v[96:97]
	v_add_f64 v[66:67], v[62:63], -v[98:99]
	v_add_f64 v[68:69], v[64:65], -v[100:101]
	v_add_f64 v[70:71], v[74:75], -v[102:103]
	v_add_f64 v[72:73], v[76:77], -v[104:105]
	v_add_f64 v[86:87], v[78:79], -v[106:107]
	v_add_f64 v[88:89], v[80:81], -v[108:109]
	v_add_f64 v[90:91], v[82:83], -v[110:111]
	v_add_f64 v[92:93], v[84:85], -v[112:113]
	v_fma_f64 v[58:59], v[58:59], 2.0, -v[54:55]
	v_fma_f64 v[60:61], v[60:61], 2.0, -v[56:57]
	;; [unrolled: 1-line block ×10, first 2 shown]
	ds_write_b128 v248, v[58:61]
	ds_write_b128 v248, v[54:57] offset:64
	ds_write_b128 v249, v[62:65]
	ds_write_b128 v249, v[66:69] offset:64
	;; [unrolled: 2-line block ×5, first 2 shown]
	s_waitcnt lgkmcnt(0)
	s_barrier
	global_load_dwordx4 v[56:59], v1, s[10:11] offset:96
	ds_read_b128 v[60:63], v159 offset:7040
	ds_read_b128 v[64:67], v159
	ds_read_b128 v[68:71], v159 offset:1408
	ds_read_b128 v[72:75], v159 offset:8448
	;; [unrolled: 1-line block ×6, first 2 shown]
	v_and_or_b32 v1, v44, s0, v0
	s_movk_i32 s0, 0x1f0
	v_lshl_add_u32 v253, v1, 4, v238
	v_and_or_b32 v1, v52, s0, v0
	s_movk_i32 s0, 0x3f0
	v_lshl_add_u32 v254, v1, 4, v238
	v_and_or_b32 v1, v45, s0, v0
	v_lshl_add_u32 v255, v1, 4, v238
	v_and_or_b32 v1, v46, s0, v0
	v_and_or_b32 v0, v47, s0, v0
	s_movk_i32 s0, 0x50
	v_lshl_add_u32 v239, v1, 4, v238
	v_lshl_add_u32 v157, v0, 4, v238
	v_cmp_gt_u16_e32 vcc, s0, v156
	s_waitcnt vmcnt(0) lgkmcnt(7)
	v_mul_f64 v[54:55], v[62:63], v[58:59]
	v_fma_f64 v[54:55], v[60:61], v[56:57], -v[54:55]
	v_mul_f64 v[60:61], v[60:61], v[58:59]
	v_fmac_f64_e32 v[60:61], v[62:63], v[56:57]
	s_waitcnt lgkmcnt(4)
	v_mul_f64 v[62:63], v[74:75], v[58:59]
	v_fma_f64 v[62:63], v[72:73], v[56:57], -v[62:63]
	v_mul_f64 v[72:73], v[72:73], v[58:59]
	v_fmac_f64_e32 v[72:73], v[74:75], v[56:57]
	s_waitcnt lgkmcnt(3)
	v_mul_f64 v[74:75], v[78:79], v[58:59]
	v_fma_f64 v[74:75], v[76:77], v[56:57], -v[74:75]
	v_mul_f64 v[76:77], v[76:77], v[58:59]
	v_add_f64 v[96:97], v[64:65], -v[54:55]
	v_add_f64 v[98:99], v[66:67], -v[60:61]
	v_fmac_f64_e32 v[76:77], v[78:79], v[56:57]
	s_waitcnt lgkmcnt(1)
	v_mul_f64 v[78:79], v[86:87], v[58:59]
	v_fma_f64 v[92:93], v[64:65], 2.0, -v[96:97]
	v_fma_f64 v[94:95], v[66:67], 2.0, -v[98:99]
	v_add_f64 v[104:105], v[68:69], -v[62:63]
	ds_read_b128 v[60:63], v159 offset:2816
	ds_read_b128 v[64:67], v159 offset:4224
	v_fma_f64 v[78:79], v[84:85], v[56:57], -v[78:79]
	v_mul_f64 v[84:85], v[84:85], v[58:59]
	v_fmac_f64_e32 v[84:85], v[86:87], v[56:57]
	s_waitcnt lgkmcnt(2)
	v_mul_f64 v[86:87], v[90:91], v[58:59]
	v_fma_f64 v[86:87], v[88:89], v[56:57], -v[86:87]
	v_mul_f64 v[88:89], v[88:89], v[58:59]
	v_fmac_f64_e32 v[88:89], v[90:91], v[56:57]
	v_add_f64 v[106:107], v[70:71], -v[72:73]
	s_waitcnt lgkmcnt(1)
	v_add_f64 v[112:113], v[60:61], -v[74:75]
	v_add_f64 v[114:115], v[62:63], -v[76:77]
	s_waitcnt lgkmcnt(0)
	v_add_f64 v[120:121], v[64:65], -v[78:79]
	v_add_f64 v[122:123], v[66:67], -v[84:85]
	;; [unrolled: 1-line block ×4, first 2 shown]
	v_fma_f64 v[100:101], v[68:69], 2.0, -v[104:105]
	v_fma_f64 v[102:103], v[70:71], 2.0, -v[106:107]
	;; [unrolled: 1-line block ×8, first 2 shown]
	s_barrier
	ds_write_b128 v253, v[92:95]
	ds_write_b128 v253, v[96:99] offset:128
	ds_write_b128 v254, v[100:103]
	ds_write_b128 v254, v[104:107] offset:128
	;; [unrolled: 2-line block ×5, first 2 shown]
	s_waitcnt lgkmcnt(0)
	s_barrier
	s_and_saveexec_b64 s[0:1], vcc
	s_cbranch_execz .LBB0_3
; %bb.2:
	ds_read_b128 v[92:95], v159
	ds_read_b128 v[96:99], v159 offset:1280
	ds_read_b128 v[100:103], v159 offset:2560
	;; [unrolled: 1-line block ×10, first 2 shown]
.LBB0_3:
	s_or_b64 exec, exec, s[0:1]
	v_and_b32_e32 v202, 15, v156
	s_movk_i32 s0, 0xa0
	v_mov_b64_e32 v[44:45], s[10:11]
	v_mad_u64_u32 v[68:69], s[0:1], v202, s0, v[44:45]
	global_load_dwordx4 v[44:47], v[68:69], off offset:224
	global_load_dwordx4 v[52:55], v[68:69], off offset:240
	;; [unrolled: 1-line block ×9, first 2 shown]
	s_nop 0
	global_load_dwordx4 v[68:71], v[68:69], off offset:368
	s_mov_b32 s18, 0xf8bb580b
	s_mov_b32 s0, 0x8764f0ba
	;; [unrolled: 1-line block ×20, first 2 shown]
	v_lshrrev_b32_e32 v203, 4, v156
	v_mov_b32_e32 v137, 0
	s_waitcnt lgkmcnt(0)
	s_barrier
	s_waitcnt vmcnt(9)
	v_mul_f64 v[138:139], v[96:97], v[46:47]
	v_mul_f64 v[160:161], v[98:99], v[46:47]
	s_waitcnt vmcnt(8)
	v_mul_f64 v[140:141], v[100:101], v[54:55]
	v_fmac_f64_e32 v[138:139], v[98:99], v[44:45]
	s_waitcnt vmcnt(5)
	v_mul_f64 v[146:147], v[112:113], v[90:91]
	v_mul_f64 v[162:163], v[102:103], v[54:55]
	s_waitcnt vmcnt(3)
	v_mul_f64 v[174:175], v[122:123], v[82:83]
	v_mul_f64 v[142:143], v[104:105], v[62:63]
	s_waitcnt vmcnt(1)
	v_mul_f64 v[154:155], v[128:129], v[78:79]
	s_waitcnt vmcnt(0)
	v_mul_f64 v[166:167], v[132:133], v[70:71]
	v_mul_f64 v[180:181], v[134:135], v[70:71]
	v_fmac_f64_e32 v[166:167], v[134:135], v[68:69]
	v_mul_f64 v[170:171], v[114:115], v[90:91]
	v_mul_f64 v[148:149], v[116:117], v[86:87]
	;; [unrolled: 1-line block ×5, first 2 shown]
	v_fma_f64 v[160:161], v[96:97], v[44:45], -v[160:161]
	v_fmac_f64_e32 v[140:141], v[102:103], v[52:53]
	v_fmac_f64_e32 v[146:147], v[114:115], v[88:89]
	v_fma_f64 v[114:115], v[120:121], v[80:81], -v[174:175]
	v_fmac_f64_e32 v[154:155], v[130:131], v[76:77]
	v_fma_f64 v[120:121], v[132:133], v[68:69], -v[180:181]
	v_add_f64 v[180:181], v[138:139], -v[166:167]
	v_mul_f64 v[164:165], v[106:107], v[62:63]
	v_mul_f64 v[168:169], v[110:111], v[66:67]
	;; [unrolled: 1-line block ×5, first 2 shown]
	v_fma_f64 v[162:163], v[100:101], v[52:53], -v[162:163]
	v_fmac_f64_e32 v[142:143], v[106:107], v[60:61]
	v_fmac_f64_e32 v[148:149], v[118:119], v[84:85]
	;; [unrolled: 1-line block ×4, first 2 shown]
	v_fma_f64 v[118:119], v[128:129], v[76:77], -v[178:179]
	v_add_f64 v[132:133], v[160:161], v[120:121]
	v_add_f64 v[174:175], v[160:161], -v[120:121]
	v_add_f64 v[184:185], v[140:141], -v[154:155]
	v_mul_f64 v[122:123], v[180:181], s[18:19]
	v_fma_f64 v[164:165], v[104:105], v[60:61], -v[164:165]
	v_fma_f64 v[108:109], v[108:109], v[64:65], -v[168:169]
	v_fmac_f64_e32 v[144:145], v[110:111], v[64:65]
	v_fma_f64 v[110:111], v[112:113], v[88:89], -v[170:171]
	v_fma_f64 v[112:113], v[116:117], v[84:85], -v[172:173]
	;; [unrolled: 1-line block ×3, first 2 shown]
	v_add_f64 v[188:189], v[138:139], v[166:167]
	v_add_f64 v[168:169], v[162:163], v[118:119]
	v_add_f64 v[176:177], v[162:163], -v[118:119]
	v_add_f64 v[186:187], v[142:143], -v[152:153]
	v_mul_f64 v[130:131], v[174:175], s[18:19]
	v_mul_f64 v[128:129], v[184:185], s[14:15]
	v_fma_f64 v[96:97], s[0:1], v[132:133], v[122:123]
	v_add_f64 v[196:197], v[140:141], v[154:155]
	v_add_f64 v[172:173], v[164:165], v[116:117]
	v_mul_f64 v[134:135], v[176:177], s[14:15]
	v_fma_f64 v[98:99], v[188:189], s[0:1], -v[130:131]
	v_fma_f64 v[100:101], s[12:13], v[168:169], v[128:129]
	v_add_f64 v[96:97], v[92:93], v[96:97]
	v_mul_f64 v[170:171], v[186:187], s[22:23]
	v_add_f64 v[192:193], v[164:165], -v[116:117]
	v_fma_f64 v[102:103], v[196:197], s[12:13], -v[134:135]
	v_add_f64 v[98:99], v[94:95], v[98:99]
	v_add_f64 v[96:97], v[100:101], v[96:97]
	v_fma_f64 v[100:101], s[16:17], v[172:173], v[170:171]
	v_add_f64 v[214:215], v[142:143], v[152:153]
	v_mul_f64 v[178:179], v[192:193], s[22:23]
	v_add_f64 v[212:213], v[144:145], -v[150:151]
	v_add_f64 v[98:99], v[102:103], v[98:99]
	v_add_f64 v[96:97], v[100:101], v[96:97]
	v_fma_f64 v[100:101], v[214:215], s[16:17], -v[178:179]
	v_add_f64 v[190:191], v[108:109], v[114:115]
	v_mul_f64 v[182:183], v[212:213], s[26:27]
	v_add_f64 v[204:205], v[108:109], -v[114:115]
	v_add_f64 v[98:99], v[100:101], v[98:99]
	v_fma_f64 v[100:101], s[24:25], v[190:191], v[182:183]
	v_add_f64 v[234:235], v[144:145], v[150:151]
	v_mul_f64 v[194:195], v[204:205], s[26:27]
	v_add_f64 v[232:233], v[146:147], -v[148:149]
	v_add_f64 v[96:97], v[100:101], v[96:97]
	v_fma_f64 v[100:101], v[234:235], s[24:25], -v[194:195]
	v_add_f64 v[200:201], v[110:111], v[112:113]
	v_mul_f64 v[198:199], v[232:233], s[30:31]
	v_add_f64 v[230:231], v[110:111], -v[112:113]
	v_add_f64 v[98:99], v[100:101], v[98:99]
	v_fma_f64 v[100:101], s[28:29], v[200:201], v[198:199]
	v_add_f64 v[236:237], v[146:147], v[148:149]
	v_mul_f64 v[206:207], v[230:231], s[30:31]
	v_add_f64 v[124:125], v[100:101], v[96:97]
	v_fma_f64 v[96:97], v[236:237], s[28:29], -v[206:207]
	v_add_f64 v[126:127], v[96:97], v[98:99]
	s_and_saveexec_b64 s[20:21], vcc
	s_cbranch_execz .LBB0_5
; %bb.4:
	v_mul_f64 v[0:1], v[132:133], s[0:1]
	v_accvgpr_write_b32 a33, v1
	v_accvgpr_write_b32 a32, v0
	v_mul_f64 v[0:1], v[168:169], s[12:13]
	v_accvgpr_write_b32 a35, v1
	v_accvgpr_write_b32 a34, v0
	;; [unrolled: 3-line block ×4, first 2 shown]
	v_accvgpr_write_b32 a23, v247
	v_mul_f64 v[246:247], v[188:189], s[28:29]
	s_mov_b32 s37, 0x3fd207e7
	s_mov_b32 s36, s30
	v_accvgpr_write_b32 a38, v0
	v_accvgpr_write_b32 a18, v242
	;; [unrolled: 1-line block ×3, first 2 shown]
	v_mul_f64 v[242:243], v[196:197], s[0:1]
	v_accvgpr_write_b32 a24, v248
	v_accvgpr_write_b32 a25, v249
	v_fma_f64 v[248:249], s[36:37], v[174:175], v[246:247]
	s_mov_b32 s39, 0x3fe14ced
	s_mov_b32 s38, s18
	v_mul_f64 v[0:1], v[180:181], s[30:31]
	v_mul_f64 v[104:105], v[214:215], s[24:25]
	s_mov_b32 s41, 0x3fe82f19
	s_mov_b32 s40, s26
	v_accvgpr_write_b32 a20, v244
	v_accvgpr_write_b32 a21, v245
	v_fma_f64 v[244:245], s[18:19], v[176:177], v[242:243]
	v_add_f64 v[248:249], v[94:95], v[248:249]
	v_accvgpr_write_b32 a30, v254
	v_accvgpr_write_b32 a31, v255
	v_mul_f64 v[254:255], v[184:185], s[38:39]
	v_fma_f64 v[2:3], s[28:29], v[132:133], v[0:1]
	v_mul_f64 v[102:103], v[234:235], s[12:13]
	v_fma_f64 v[106:107], s[40:41], v[192:193], v[104:105]
	v_add_f64 v[244:245], v[244:245], v[248:249]
	s_mov_b32 s43, 0x3fed1bb4
	s_mov_b32 s42, s14
	v_accvgpr_write_b32 a26, v250
	v_accvgpr_write_b32 a27, v251
	v_mul_f64 v[250:251], v[186:187], s[26:27]
	v_accvgpr_write_b32 a16, v240
	v_accvgpr_write_b32 a17, v241
	v_fma_f64 v[240:241], s[0:1], v[168:169], v[254:255]
	v_add_f64 v[2:3], v[92:93], v[2:3]
	v_mul_f64 v[100:101], v[236:237], s[16:17]
	s_mov_b32 s35, 0x3fefac9e
	s_mov_b32 s34, s22
	v_fma_f64 v[98:99], s[14:15], v[204:205], v[102:103]
	v_add_f64 v[106:107], v[106:107], v[244:245]
	v_mul_f64 v[244:245], v[212:213], s[42:43]
	v_accvgpr_write_b32 a28, v252
	v_accvgpr_write_b32 a29, v253
	v_fma_f64 v[252:253], s[24:25], v[172:173], v[250:251]
	v_add_f64 v[2:3], v[240:241], v[2:3]
	v_fma_f64 v[96:97], s[34:35], v[230:231], v[100:101]
	v_add_f64 v[98:99], v[98:99], v[106:107]
	v_mul_f64 v[106:107], v[232:233], s[22:23]
	v_fma_f64 v[248:249], s[12:13], v[190:191], v[244:245]
	v_add_f64 v[2:3], v[252:253], v[2:3]
	v_add_f64 v[98:99], v[96:97], v[98:99]
	v_fma_f64 v[96:97], s[16:17], v[200:201], v[106:107]
	v_add_f64 v[2:3], v[248:249], v[2:3]
	v_fmac_f64_e32 v[246:247], s[30:31], v[174:175]
	v_add_f64 v[96:97], v[96:97], v[2:3]
	v_fmac_f64_e32 v[242:243], s[38:39], v[176:177]
	;; [unrolled: 2-line block ×5, first 2 shown]
	v_add_f64 v[2:3], v[102:103], v[2:3]
	v_fma_f64 v[0:1], v[132:133], s[28:29], -v[0:1]
	v_add_f64 v[102:103], v[100:101], v[2:3]
	v_fma_f64 v[2:3], v[200:201], s[16:17], -v[106:107]
	v_fma_f64 v[106:107], v[168:169], s[0:1], -v[254:255]
	v_add_f64 v[0:1], v[92:93], v[0:1]
	v_mul_f64 v[248:249], v[188:189], s[24:25]
	v_fma_f64 v[100:101], v[190:191], s[12:13], -v[244:245]
	v_fma_f64 v[104:105], v[172:173], s[24:25], -v[250:251]
	v_add_f64 v[0:1], v[106:107], v[0:1]
	v_mul_f64 v[244:245], v[196:197], s[16:17]
	v_fma_f64 v[250:251], s[40:41], v[174:175], v[248:249]
	v_add_f64 v[0:1], v[104:105], v[0:1]
	v_mul_f64 v[242:243], v[214:215], s[0:1]
	v_fma_f64 v[246:247], s[22:23], v[176:177], v[244:245]
	v_add_f64 v[250:251], v[94:95], v[250:251]
	v_accvgpr_write_b32 a0, v208
	v_mul_f64 v[4:5], v[180:181], s[26:27]
	v_add_f64 v[0:1], v[100:101], v[0:1]
	v_mul_f64 v[240:241], v[234:235], s[28:29]
	v_fma_f64 v[106:107], s[38:39], v[192:193], v[242:243]
	v_add_f64 v[246:247], v[246:247], v[250:251]
	v_accvgpr_write_b32 a1, v209
	v_accvgpr_write_b32 a2, v210
	v_accvgpr_write_b32 a3, v211
	v_mul_f64 v[208:209], v[184:185], s[34:35]
	v_fma_f64 v[6:7], s[24:25], v[132:133], v[4:5]
	v_add_f64 v[100:101], v[2:3], v[0:1]
	v_mul_f64 v[0:1], v[236:237], s[12:13]
	v_fma_f64 v[104:105], s[36:37], v[204:205], v[240:241]
	v_add_f64 v[106:107], v[106:107], v[246:247]
	;; [unrolled: 3-line block ×3, first 2 shown]
	v_fma_f64 v[2:3], s[14:15], v[230:231], v[0:1]
	v_add_f64 v[104:105], v[104:105], v[106:107]
	v_mul_f64 v[246:247], v[212:213], s[30:31]
	v_fma_f64 v[254:255], s[0:1], v[172:173], v[252:253]
	v_add_f64 v[6:7], v[210:211], v[6:7]
	v_add_f64 v[106:107], v[2:3], v[104:105]
	v_mul_f64 v[2:3], v[232:233], s[42:43]
	v_fma_f64 v[250:251], s[28:29], v[190:191], v[246:247]
	v_add_f64 v[6:7], v[254:255], v[6:7]
	v_fma_f64 v[104:105], s[12:13], v[200:201], v[2:3]
	v_add_f64 v[6:7], v[250:251], v[6:7]
	v_fmac_f64_e32 v[248:249], s[26:27], v[174:175]
	v_add_f64 v[104:105], v[104:105], v[6:7]
	v_fmac_f64_e32 v[244:245], s[34:35], v[176:177]
	;; [unrolled: 2-line block ×4, first 2 shown]
	v_add_f64 v[6:7], v[242:243], v[6:7]
	v_fma_f64 v[4:5], v[132:133], s[24:25], -v[4:5]
	v_fmac_f64_e32 v[0:1], s[42:43], v[230:231]
	v_add_f64 v[6:7], v[240:241], v[6:7]
	v_fma_f64 v[208:209], v[168:169], s[16:17], -v[208:209]
	v_add_f64 v[4:5], v[92:93], v[4:5]
	v_mul_f64 v[250:251], v[188:189], s[16:17]
	v_add_f64 v[244:245], v[0:1], v[6:7]
	v_fma_f64 v[6:7], v[172:173], s[0:1], -v[252:253]
	v_add_f64 v[4:5], v[208:209], v[4:5]
	v_mul_f64 v[240:241], v[196:197], s[28:29]
	v_fma_f64 v[248:249], s[34:35], v[174:175], v[250:251]
	v_fma_f64 v[0:1], v[200:201], s[12:13], -v[2:3]
	v_fma_f64 v[2:3], v[190:191], s[28:29], -v[246:247]
	v_add_f64 v[4:5], v[6:7], v[4:5]
	v_mul_f64 v[208:209], v[214:215], s[12:13]
	v_fma_f64 v[246:247], s[30:31], v[176:177], v[240:241]
	v_add_f64 v[248:249], v[94:95], v[248:249]
	v_mul_f64 v[12:13], v[180:181], s[22:23]
	v_add_f64 v[2:3], v[2:3], v[4:5]
	v_mul_f64 v[4:5], v[234:235], s[0:1]
	v_fma_f64 v[210:211], s[14:15], v[192:193], v[208:209]
	v_add_f64 v[246:247], v[246:247], v[248:249]
	v_mul_f64 v[8:9], v[184:185], s[36:37]
	v_fma_f64 v[14:15], s[16:17], v[132:133], v[12:13]
	;; [unrolled: 3-line block ×4, first 2 shown]
	v_add_f64 v[14:15], v[92:93], v[14:15]
	v_fma_f64 v[2:3], s[40:41], v[230:231], v[0:1]
	v_add_f64 v[6:7], v[6:7], v[210:211]
	v_mul_f64 v[210:211], v[212:213], s[18:19]
	v_fma_f64 v[252:253], s[12:13], v[172:173], v[254:255]
	v_add_f64 v[10:11], v[10:11], v[14:15]
	v_add_f64 v[248:249], v[2:3], v[6:7]
	v_mul_f64 v[2:3], v[232:233], s[26:27]
	v_fma_f64 v[246:247], s[0:1], v[190:191], v[210:211]
	v_add_f64 v[10:11], v[252:253], v[10:11]
	v_fma_f64 v[6:7], s[24:25], v[200:201], v[2:3]
	v_add_f64 v[10:11], v[246:247], v[10:11]
	v_fmac_f64_e32 v[250:251], s[22:23], v[174:175]
	v_add_f64 v[246:247], v[6:7], v[10:11]
	v_fmac_f64_e32 v[240:241], s[36:37], v[176:177]
	;; [unrolled: 2-line block ×4, first 2 shown]
	v_add_f64 v[6:7], v[208:209], v[6:7]
	v_accvgpr_write_b32 a4, v220
	v_add_f64 v[4:5], v[4:5], v[6:7]
	v_fma_f64 v[6:7], v[168:169], s[28:29], -v[8:9]
	v_fma_f64 v[8:9], v[132:133], s[16:17], -v[12:13]
	v_accvgpr_write_b32 a5, v221
	v_accvgpr_write_b32 a6, v222
	;; [unrolled: 1-line block ×3, first 2 shown]
	v_mul_f64 v[222:223], v[196:197], s[12:13]
	v_fmac_f64_e32 v[0:1], s[26:27], v[230:231]
	v_add_f64 v[8:9], v[92:93], v[8:9]
	v_mul_f64 v[12:13], v[196:197], s[24:25]
	v_mul_f64 v[196:197], v[188:189], s[12:13]
	;; [unrolled: 1-line block ×3, first 2 shown]
	v_add_f64 v[252:253], v[0:1], v[4:5]
	v_fma_f64 v[4:5], v[172:173], s[12:13], -v[254:255]
	v_add_f64 v[6:7], v[6:7], v[8:9]
	v_fma_f64 v[188:189], s[42:43], v[174:175], v[196:197]
	v_fma_f64 v[0:1], v[200:201], s[24:25], -v[2:3]
	v_fma_f64 v[2:3], v[190:191], s[0:1], -v[210:211]
	v_add_f64 v[4:5], v[4:5], v[6:7]
	v_mul_f64 v[8:9], v[214:215], s[28:29]
	v_fma_f64 v[14:15], s[40:41], v[176:177], v[12:13]
	v_add_f64 v[188:189], v[94:95], v[188:189]
	v_add_f64 v[2:3], v[2:3], v[4:5]
	v_mul_f64 v[4:5], v[234:235], s[16:17]
	v_fma_f64 v[10:11], s[30:31], v[192:193], v[8:9]
	v_add_f64 v[14:15], v[14:15], v[188:189]
	v_fma_f64 v[6:7], s[22:23], v[204:205], v[4:5]
	v_add_f64 v[10:11], v[10:11], v[14:15]
	v_mul_f64 v[180:181], v[180:181], s[14:15]
	v_add_f64 v[6:7], v[6:7], v[10:11]
	v_mul_f64 v[10:11], v[212:213], s[34:35]
	v_mul_f64 v[184:185], v[184:185], s[26:27]
	v_fma_f64 v[212:213], s[12:13], v[132:133], v[180:181]
	v_add_f64 v[250:251], v[0:1], v[2:3]
	v_mul_f64 v[0:1], v[236:237], s[0:1]
	v_mul_f64 v[208:209], v[186:187], s[36:37]
	v_fma_f64 v[210:211], s[24:25], v[168:169], v[184:185]
	v_add_f64 v[212:213], v[92:93], v[212:213]
	v_fma_f64 v[2:3], s[18:19], v[230:231], v[0:1]
	v_fma_f64 v[186:187], s[28:29], v[172:173], v[208:209]
	v_add_f64 v[210:211], v[210:211], v[212:213]
	v_add_f64 v[188:189], v[2:3], v[6:7]
	v_mul_f64 v[2:3], v[232:233], s[38:39]
	v_fma_f64 v[14:15], s[16:17], v[190:191], v[10:11]
	v_add_f64 v[186:187], v[186:187], v[210:211]
	v_fma_f64 v[6:7], s[0:1], v[200:201], v[2:3]
	v_add_f64 v[14:15], v[14:15], v[186:187]
	v_fmac_f64_e32 v[196:197], s[14:15], v[174:175]
	v_add_f64 v[186:187], v[6:7], v[14:15]
	v_fmac_f64_e32 v[12:13], s[26:27], v[176:177]
	;; [unrolled: 2-line block ×4, first 2 shown]
	v_add_f64 v[6:7], v[8:9], v[6:7]
	v_fma_f64 v[8:9], v[132:133], s[12:13], -v[180:181]
	v_fmac_f64_e32 v[0:1], s[38:39], v[230:231]
	v_add_f64 v[4:5], v[4:5], v[6:7]
	v_fma_f64 v[6:7], v[168:169], s[24:25], -v[184:185]
	v_add_f64 v[8:9], v[92:93], v[8:9]
	v_accvgpr_write_b32 a8, v224
	v_add_f64 v[174:175], v[0:1], v[4:5]
	v_fma_f64 v[4:5], v[172:173], s[28:29], -v[208:209]
	v_add_f64 v[6:7], v[6:7], v[8:9]
	v_add_f64 v[8:9], v[130:131], v[220:221]
	v_accvgpr_write_b32 a9, v225
	v_accvgpr_write_b32 a10, v226
	;; [unrolled: 1-line block ×3, first 2 shown]
	v_mul_f64 v[224:225], v[214:215], s[16:17]
	v_fma_f64 v[0:1], v[200:201], s[0:1], -v[2:3]
	v_fma_f64 v[2:3], v[190:191], s[16:17], -v[10:11]
	v_add_f64 v[4:5], v[4:5], v[6:7]
	v_add_f64 v[6:7], v[134:135], v[222:223]
	;; [unrolled: 1-line block ×3, first 2 shown]
	v_mul_f64 v[226:227], v[234:235], s[24:25]
	v_add_f64 v[2:3], v[2:3], v[4:5]
	v_add_f64 v[4:5], v[178:179], v[224:225]
	v_add_f64 v[6:7], v[6:7], v[8:9]
	v_accvgpr_read_b32 v8, a32
	v_accvgpr_write_b32 a14, v228
	v_accvgpr_write_b32 a15, v229
	v_mul_f64 v[228:229], v[236:237], s[28:29]
	v_add_f64 v[172:173], v[0:1], v[2:3]
	v_add_f64 v[2:3], v[194:195], v[226:227]
	;; [unrolled: 1-line block ×3, first 2 shown]
	v_accvgpr_read_b32 v6, a34
	v_accvgpr_read_b32 v9, a33
	v_add_f64 v[0:1], v[206:207], v[228:229]
	v_add_f64 v[2:3], v[2:3], v[4:5]
	v_accvgpr_read_b32 v4, a36
	v_accvgpr_read_b32 v7, a35
	v_add_f64 v[8:9], v[8:9], -v[122:123]
	v_add_f64 v[130:131], v[0:1], v[2:3]
	v_accvgpr_read_b32 v2, a38
	v_accvgpr_read_b32 v5, a37
	v_add_f64 v[6:7], v[6:7], -v[128:129]
	v_add_f64 v[8:9], v[92:93], v[8:9]
	v_accvgpr_read_b32 v3, a39
	v_add_f64 v[4:5], v[4:5], -v[170:171]
	v_add_f64 v[6:7], v[6:7], v[8:9]
	v_accvgpr_write_b32 a12, v202
	v_accvgpr_write_b32 a13, v203
	v_mul_f64 v[202:203], v[200:201], s[28:29]
	v_add_f64 v[2:3], v[2:3], -v[182:183]
	v_add_f64 v[4:5], v[4:5], v[6:7]
	v_add_f64 v[0:1], v[202:203], -v[198:199]
	v_add_f64 v[2:3], v[2:3], v[4:5]
	v_add_f64 v[128:129], v[0:1], v[2:3]
	v_add_f64 v[0:1], v[94:95], v[138:139]
	v_add_f64 v[0:1], v[0:1], v[140:141]
	v_add_f64 v[0:1], v[0:1], v[142:143]
	v_add_f64 v[0:1], v[0:1], v[144:145]
	v_add_f64 v[0:1], v[0:1], v[146:147]
	v_add_f64 v[0:1], v[0:1], v[148:149]
	v_add_f64 v[0:1], v[0:1], v[150:151]
	v_add_f64 v[0:1], v[0:1], v[152:153]
	v_add_f64 v[0:1], v[0:1], v[154:155]
	v_add_f64 v[94:95], v[0:1], v[166:167]
	v_add_f64 v[0:1], v[92:93], v[160:161]
	v_add_f64 v[0:1], v[0:1], v[162:163]
	v_add_f64 v[0:1], v[0:1], v[164:165]
	v_add_f64 v[0:1], v[0:1], v[108:109]
	v_add_f64 v[0:1], v[0:1], v[110:111]
	v_add_f64 v[0:1], v[0:1], v[112:113]
	v_add_f64 v[0:1], v[0:1], v[114:115]
	v_add_f64 v[0:1], v[0:1], v[116:117]
	v_accvgpr_read_b32 v203, a13
	v_add_f64 v[0:1], v[0:1], v[118:119]
	v_accvgpr_read_b32 v202, a12
	v_add_f64 v[92:93], v[0:1], v[120:121]
	v_mul_u32_u24_e32 v0, 0xb0, v203
	v_or_b32_e32 v0, v0, v202
	v_accvgpr_read_b32 v211, a3
	v_accvgpr_read_b32 v227, a11
	;; [unrolled: 1-line block ×3, first 2 shown]
	v_lshl_add_u32 v0, v0, 4, v238
	v_accvgpr_read_b32 v241, a17
	v_accvgpr_read_b32 v240, a16
	;; [unrolled: 1-line block ×15, first 2 shown]
	ds_write_b128 v0, v[92:95]
	ds_write_b128 v0, v[128:131] offset:256
	ds_write_b128 v0, v[172:175] offset:512
	;; [unrolled: 1-line block ×3, first 2 shown]
	v_accvgpr_read_b32 v253, a29
	v_accvgpr_read_b32 v252, a28
	;; [unrolled: 1-line block ×4, first 2 shown]
	ds_write_b128 v0, v[242:245] offset:1024
	v_accvgpr_read_b32 v245, a21
	v_accvgpr_read_b32 v244, a20
	;; [unrolled: 1-line block ×4, first 2 shown]
	ds_write_b128 v0, v[100:103] offset:1280
	ds_write_b128 v0, v[96:99] offset:1536
	;; [unrolled: 1-line block ×4, first 2 shown]
	v_accvgpr_read_b32 v249, a25
	v_accvgpr_read_b32 v248, a24
	;; [unrolled: 1-line block ×4, first 2 shown]
	ds_write_b128 v0, v[186:189] offset:2304
	ds_write_b128 v0, v[124:127] offset:2560
.LBB0_5:
	s_or_b64 exec, exec, s[20:21]
	v_lshlrev_b32_e32 v0, 6, v156
	s_waitcnt lgkmcnt(0)
	s_barrier
	global_load_dwordx4 v[104:107], v0, s[10:11] offset:2784
	global_load_dwordx4 v[100:103], v0, s[10:11] offset:2800
	global_load_dwordx4 v[96:99], v0, s[10:11] offset:2816
	global_load_dwordx4 v[92:95], v0, s[10:11] offset:2832
	v_lshlrev_b32_e32 v0, 6, v136
	global_load_dwordx4 v[120:123], v0, s[10:11] offset:2784
	global_load_dwordx4 v[116:119], v0, s[10:11] offset:2800
	;; [unrolled: 1-line block ×4, first 2 shown]
	ds_read_b128 v[132:135], v159
	ds_read_b128 v[128:131], v159 offset:1408
	ds_read_b128 v[138:141], v159 offset:2816
	;; [unrolled: 1-line block ×9, first 2 shown]
	s_mov_b32 s10, 0x134454ff
	s_mov_b32 s11, 0x3fee6f0e
	;; [unrolled: 1-line block ×10, first 2 shown]
	v_lshlrev_b32_e32 v136, 4, v156
	v_lshl_add_u64 v[136:137], s[8:9], 0, v[136:137]
	s_waitcnt vmcnt(7) lgkmcnt(7)
	v_mul_f64 v[0:1], v[140:141], v[106:107]
	s_waitcnt vmcnt(6) lgkmcnt(5)
	v_mul_f64 v[4:5], v[148:149], v[102:103]
	;; [unrolled: 2-line block ×3, first 2 shown]
	v_mul_f64 v[2:3], v[138:139], v[106:107]
	s_waitcnt vmcnt(4) lgkmcnt(1)
	v_mul_f64 v[12:13], v[170:171], v[94:95]
	v_mul_f64 v[14:15], v[168:169], v[94:95]
	v_fma_f64 v[0:1], v[138:139], v[104:105], -v[0:1]
	v_fma_f64 v[4:5], v[146:147], v[100:101], -v[4:5]
	;; [unrolled: 1-line block ×3, first 2 shown]
	v_mul_f64 v[6:7], v[146:147], v[102:103]
	v_mul_f64 v[10:11], v[160:161], v[98:99]
	s_waitcnt vmcnt(3)
	v_mul_f64 v[154:155], v[144:145], v[122:123]
	v_mul_f64 v[176:177], v[142:143], v[122:123]
	s_waitcnt vmcnt(2)
	v_mul_f64 v[180:181], v[150:151], v[118:119]
	v_fmac_f64_e32 v[2:3], v[140:141], v[104:105]
	v_fma_f64 v[12:13], v[168:169], v[92:93], -v[12:13]
	v_fmac_f64_e32 v[14:15], v[170:171], v[92:93]
	v_add_f64 v[138:139], v[132:133], v[0:1]
	v_add_f64 v[140:141], v[4:5], v[8:9]
	v_mul_f64 v[178:179], v[152:153], v[118:119]
	v_fmac_f64_e32 v[6:7], v[148:149], v[100:101]
	v_fmac_f64_e32 v[10:11], v[162:163], v[96:97]
	v_fma_f64 v[154:155], v[142:143], v[120:121], -v[154:155]
	v_fmac_f64_e32 v[176:177], v[144:145], v[120:121]
	v_fmac_f64_e32 v[180:181], v[152:153], v[116:117]
	v_add_f64 v[144:145], v[2:3], -v[14:15]
	v_add_f64 v[142:143], v[0:1], -v[4:5]
	;; [unrolled: 1-line block ×3, first 2 shown]
	v_add_f64 v[152:153], v[138:139], v[4:5]
	v_fma_f64 v[138:139], -0.5, v[140:141], v[132:133]
	v_fma_f64 v[178:179], v[150:151], v[116:117], -v[178:179]
	v_add_f64 v[148:149], v[6:7], -v[10:11]
	v_add_f64 v[150:151], v[0:1], v[12:13]
	v_add_f64 v[140:141], v[142:143], v[146:147]
	v_fma_f64 v[142:143], s[10:11], v[144:145], v[138:139]
	v_fmac_f64_e32 v[138:139], s[14:15], v[144:145]
	v_fmac_f64_e32 v[132:133], -0.5, v[150:151]
	v_fmac_f64_e32 v[142:143], s[0:1], v[148:149]
	v_fmac_f64_e32 v[138:139], s[16:17], v[148:149]
	v_add_f64 v[150:151], v[152:153], v[8:9]
	v_fma_f64 v[146:147], s[14:15], v[148:149], v[132:133]
	v_fmac_f64_e32 v[142:143], s[12:13], v[140:141]
	v_fmac_f64_e32 v[138:139], s[12:13], v[140:141]
	v_add_f64 v[140:141], v[4:5], -v[0:1]
	v_add_f64 v[152:153], v[8:9], -v[12:13]
	v_fmac_f64_e32 v[132:133], s[10:11], v[148:149]
	v_fmac_f64_e32 v[146:147], s[0:1], v[144:145]
	v_add_f64 v[140:141], v[140:141], v[152:153]
	v_fmac_f64_e32 v[132:133], s[16:17], v[144:145]
	v_fmac_f64_e32 v[146:147], s[12:13], v[140:141]
	v_fmac_f64_e32 v[132:133], s[12:13], v[140:141]
	v_add_f64 v[140:141], v[134:135], v[2:3]
	v_add_f64 v[140:141], v[140:141], v[6:7]
	;; [unrolled: 1-line block ×5, first 2 shown]
	v_fma_f64 v[140:141], -0.5, v[140:141], v[134:135]
	v_add_f64 v[0:1], v[0:1], -v[12:13]
	v_add_f64 v[150:151], v[150:151], v[12:13]
	v_fma_f64 v[144:145], s[14:15], v[0:1], v[140:141]
	v_add_f64 v[4:5], v[4:5], -v[8:9]
	v_add_f64 v[8:9], v[2:3], -v[6:7]
	;; [unrolled: 1-line block ×3, first 2 shown]
	v_fmac_f64_e32 v[140:141], s[10:11], v[0:1]
	v_fmac_f64_e32 v[144:145], s[16:17], v[4:5]
	v_add_f64 v[8:9], v[8:9], v[12:13]
	v_fmac_f64_e32 v[140:141], s[0:1], v[4:5]
	v_fmac_f64_e32 v[144:145], s[12:13], v[8:9]
	;; [unrolled: 1-line block ×3, first 2 shown]
	v_add_f64 v[8:9], v[2:3], v[14:15]
	v_fmac_f64_e32 v[134:135], -0.5, v[8:9]
	v_fma_f64 v[148:149], s[10:11], v[4:5], v[134:135]
	v_fmac_f64_e32 v[134:135], s[14:15], v[4:5]
	s_waitcnt vmcnt(1)
	v_mul_f64 v[182:183], v[166:167], v[114:115]
	v_fmac_f64_e32 v[148:149], s[16:17], v[0:1]
	v_fmac_f64_e32 v[134:135], s[0:1], v[0:1]
	v_add_f64 v[0:1], v[128:129], v[154:155]
	s_waitcnt vmcnt(0) lgkmcnt(0)
	v_mul_f64 v[186:187], v[174:175], v[110:111]
	v_fma_f64 v[182:183], v[164:165], v[112:113], -v[182:183]
	v_add_f64 v[0:1], v[0:1], v[178:179]
	v_mul_f64 v[188:189], v[172:173], v[110:111]
	v_fma_f64 v[170:171], v[172:173], v[108:109], -v[186:187]
	v_add_f64 v[0:1], v[0:1], v[182:183]
	v_mul_f64 v[184:185], v[164:165], v[114:115]
	v_fmac_f64_e32 v[188:189], v[174:175], v[108:109]
	v_add_f64 v[2:3], v[6:7], -v[2:3]
	v_add_f64 v[6:7], v[10:11], -v[14:15]
	v_add_f64 v[160:161], v[0:1], v[170:171]
	v_add_f64 v[0:1], v[178:179], v[182:183]
	v_fmac_f64_e32 v[184:185], v[166:167], v[112:113]
	v_add_f64 v[2:3], v[2:3], v[6:7]
	v_fma_f64 v[164:165], -0.5, v[0:1], v[128:129]
	v_add_f64 v[0:1], v[176:177], -v[188:189]
	v_fmac_f64_e32 v[148:149], s[12:13], v[2:3]
	v_fmac_f64_e32 v[134:135], s[12:13], v[2:3]
	v_fma_f64 v[168:169], s[10:11], v[0:1], v[164:165]
	v_add_f64 v[2:3], v[180:181], -v[184:185]
	v_add_f64 v[4:5], v[154:155], -v[178:179]
	;; [unrolled: 1-line block ×3, first 2 shown]
	v_fmac_f64_e32 v[164:165], s[14:15], v[0:1]
	v_fmac_f64_e32 v[168:169], s[0:1], v[2:3]
	v_add_f64 v[4:5], v[4:5], v[6:7]
	v_fmac_f64_e32 v[164:165], s[16:17], v[2:3]
	v_fmac_f64_e32 v[168:169], s[12:13], v[4:5]
	;; [unrolled: 1-line block ×3, first 2 shown]
	v_add_f64 v[4:5], v[154:155], v[170:171]
	v_fmac_f64_e32 v[128:129], -0.5, v[4:5]
	v_fma_f64 v[172:173], s[14:15], v[2:3], v[128:129]
	v_fmac_f64_e32 v[128:129], s[10:11], v[2:3]
	v_fmac_f64_e32 v[172:173], s[0:1], v[0:1]
	v_fmac_f64_e32 v[128:129], s[16:17], v[0:1]
	v_add_f64 v[0:1], v[130:131], v[176:177]
	v_add_f64 v[0:1], v[0:1], v[180:181]
	;; [unrolled: 1-line block ×3, first 2 shown]
	v_add_f64 v[4:5], v[178:179], -v[154:155]
	v_add_f64 v[6:7], v[182:183], -v[170:171]
	v_add_f64 v[162:163], v[0:1], v[188:189]
	v_add_f64 v[0:1], v[180:181], v[184:185]
	;; [unrolled: 1-line block ×3, first 2 shown]
	v_fma_f64 v[166:167], -0.5, v[0:1], v[130:131]
	v_add_f64 v[0:1], v[154:155], -v[170:171]
	v_fmac_f64_e32 v[172:173], s[12:13], v[4:5]
	v_fmac_f64_e32 v[128:129], s[12:13], v[4:5]
	v_fma_f64 v[170:171], s[14:15], v[0:1], v[166:167]
	v_add_f64 v[2:3], v[178:179], -v[182:183]
	v_add_f64 v[4:5], v[176:177], -v[180:181]
	;; [unrolled: 1-line block ×3, first 2 shown]
	v_fmac_f64_e32 v[166:167], s[10:11], v[0:1]
	v_fmac_f64_e32 v[170:171], s[16:17], v[2:3]
	v_add_f64 v[4:5], v[4:5], v[6:7]
	v_fmac_f64_e32 v[166:167], s[0:1], v[2:3]
	v_fmac_f64_e32 v[170:171], s[12:13], v[4:5]
	;; [unrolled: 1-line block ×3, first 2 shown]
	v_add_f64 v[4:5], v[176:177], v[188:189]
	v_fmac_f64_e32 v[130:131], -0.5, v[4:5]
	v_fma_f64 v[174:175], s[10:11], v[2:3], v[130:131]
	v_fmac_f64_e32 v[130:131], s[14:15], v[2:3]
	v_fmac_f64_e32 v[130:131], s[0:1], v[0:1]
	s_movk_i32 s0, 0x3000
	v_fmac_f64_e32 v[174:175], s[16:17], v[0:1]
	v_add_f64 v[4:5], v[180:181], -v[176:177]
	v_add_f64 v[6:7], v[184:185], -v[188:189]
	v_add_co_u32_e64 v0, s[0:1], s0, v136
	v_add_f64 v[4:5], v[4:5], v[6:7]
	s_nop 0
	v_addc_co_u32_e64 v1, s[0:1], 0, v137, s[0:1]
	v_fmac_f64_e32 v[130:131], s[12:13], v[4:5]
	v_lshl_add_u32 v176, v156, 4, v238
	s_movk_i32 s0, 0x5000
	v_fmac_f64_e32 v[174:175], s[12:13], v[4:5]
	ds_write_b128 v159, v[150:153]
	ds_write_b128 v159, v[142:145] offset:2816
	ds_write_b128 v159, v[146:149] offset:5632
	;; [unrolled: 1-line block ×9, first 2 shown]
	s_waitcnt lgkmcnt(0)
	s_barrier
	global_load_dwordx4 v[128:131], v[0:1], off offset:1792
	v_add_co_u32_e64 v0, s[0:1], s0, v136
	s_nop 1
	v_addc_co_u32_e64 v1, s[0:1], 0, v137, s[0:1]
	global_load_dwordx4 v[132:135], v[0:1], off offset:640
	s_mov_b64 s[0:1], 0x3700
	v_lshl_add_u64 v[2:3], v[136:137], 0, s[0:1]
	global_load_dwordx4 v[138:141], v[2:3], off offset:1408
	global_load_dwordx4 v[142:145], v[0:1], off offset:2048
	;; [unrolled: 1-line block ×4, first 2 shown]
	s_movk_i32 s0, 0x4000
	v_add_co_u32_e64 v0, s[0:1], s0, v136
	s_nop 1
	v_addc_co_u32_e64 v1, s[0:1], 0, v137, s[0:1]
	global_load_dwordx4 v[160:163], v[0:1], off offset:1920
	s_movk_i32 s0, 0x6000
	v_add_co_u32_e64 v2, s[0:1], s0, v136
	s_nop 1
	v_addc_co_u32_e64 v3, s[0:1], 0, v137, s[0:1]
	global_load_dwordx4 v[164:167], v[2:3], off offset:768
	global_load_dwordx4 v[168:171], v[0:1], off offset:3328
	;; [unrolled: 1-line block ×3, first 2 shown]
	ds_read_b128 v[178:181], v159
	ds_read_b128 v[182:185], v159 offset:1408
	ds_read_b128 v[190:193], v159 offset:7040
	s_waitcnt vmcnt(9) lgkmcnt(2)
	v_mul_f64 v[0:1], v[180:181], v[130:131]
	v_mul_f64 v[188:189], v[178:179], v[130:131]
	v_fma_f64 v[186:187], v[178:179], v[128:129], -v[0:1]
	v_fmac_f64_e32 v[188:189], v[180:181], v[128:129]
	ds_read_b128 v[128:131], v159 offset:5632
	ds_write_b128 v159, v[186:189]
	s_waitcnt vmcnt(8) lgkmcnt(2)
	v_mul_f64 v[0:1], v[192:193], v[134:135]
	v_mul_f64 v[180:181], v[190:191], v[134:135]
	v_fma_f64 v[178:179], v[190:191], v[132:133], -v[0:1]
	v_fmac_f64_e32 v[180:181], v[192:193], v[132:133]
	ds_write_b128 v159, v[178:181] offset:7040
	ds_read_b128 v[178:181], v159 offset:8448
	s_waitcnt vmcnt(7)
	v_mul_f64 v[0:1], v[184:185], v[140:141]
	v_mul_f64 v[134:135], v[182:183], v[140:141]
	v_fma_f64 v[132:133], v[182:183], v[138:139], -v[0:1]
	v_fmac_f64_e32 v[134:135], v[184:185], v[138:139]
	ds_read_b128 v[182:185], v159 offset:2816
	ds_write_b128 v159, v[132:135] offset:1408
	ds_read_b128 v[132:135], v159 offset:9856
	s_waitcnt vmcnt(6) lgkmcnt(3)
	v_mul_f64 v[0:1], v[180:181], v[144:145]
	v_mul_f64 v[138:139], v[178:179], v[144:145]
	v_fma_f64 v[136:137], v[178:179], v[142:143], -v[0:1]
	v_fmac_f64_e32 v[138:139], v[180:181], v[142:143]
	ds_write_b128 v159, v[136:139] offset:8448
	ds_read_b128 v[136:139], v159 offset:4224
	s_waitcnt vmcnt(5) lgkmcnt(4)
	v_mul_f64 v[0:1], v[184:185], v[148:149]
	v_mul_f64 v[142:143], v[182:183], v[148:149]
	v_fma_f64 v[140:141], v[182:183], v[146:147], -v[0:1]
	v_fmac_f64_e32 v[142:143], v[184:185], v[146:147]
	ds_write_b128 v159, v[140:143] offset:2816
	s_waitcnt vmcnt(4) lgkmcnt(3)
	v_mul_f64 v[0:1], v[134:135], v[152:153]
	v_mul_f64 v[142:143], v[132:133], v[152:153]
	v_fma_f64 v[140:141], v[132:133], v[150:151], -v[0:1]
	v_fmac_f64_e32 v[142:143], v[134:135], v[150:151]
	ds_write_b128 v159, v[140:143] offset:9856
	ds_read_b128 v[140:143], v159 offset:11264
	s_waitcnt vmcnt(3) lgkmcnt(3)
	v_mul_f64 v[0:1], v[138:139], v[162:163]
	v_mul_f64 v[134:135], v[136:137], v[162:163]
	v_fma_f64 v[132:133], v[136:137], v[160:161], -v[0:1]
	v_fmac_f64_e32 v[134:135], v[138:139], v[160:161]
	ds_write_b128 v159, v[132:135] offset:4224
	ds_read_b128 v[132:135], v159 offset:12672
	s_waitcnt vmcnt(2) lgkmcnt(2)
	v_mul_f64 v[0:1], v[142:143], v[166:167]
	v_mul_f64 v[138:139], v[140:141], v[166:167]
	v_fma_f64 v[136:137], v[140:141], v[164:165], -v[0:1]
	v_fmac_f64_e32 v[138:139], v[142:143], v[164:165]
	ds_write_b128 v159, v[136:139] offset:11264
	s_waitcnt vmcnt(1)
	v_mul_f64 v[0:1], v[130:131], v[170:171]
	v_mul_f64 v[138:139], v[128:129], v[170:171]
	v_fma_f64 v[136:137], v[128:129], v[168:169], -v[0:1]
	v_fmac_f64_e32 v[138:139], v[130:131], v[168:169]
	s_waitcnt vmcnt(0) lgkmcnt(1)
	v_mul_f64 v[0:1], v[134:135], v[174:175]
	v_mul_f64 v[130:131], v[132:133], v[174:175]
	v_fma_f64 v[128:129], v[132:133], v[172:173], -v[0:1]
	v_fmac_f64_e32 v[130:131], v[134:135], v[172:173]
	ds_write_b128 v159, v[136:139] offset:5632
	ds_write_b128 v159, v[128:131] offset:12672
	s_waitcnt lgkmcnt(0)
	s_barrier
	ds_read_b128 v[128:131], v159 offset:7040
	ds_read_b128 v[132:135], v159
	ds_read_b128 v[136:139], v159 offset:1408
	ds_read_b128 v[140:143], v159 offset:8448
	;; [unrolled: 1-line block ×8, first 2 shown]
	s_waitcnt lgkmcnt(8)
	v_add_f64 v[128:129], v[132:133], -v[128:129]
	v_add_f64 v[130:131], v[134:135], -v[130:131]
	s_waitcnt lgkmcnt(6)
	v_add_f64 v[140:141], v[136:137], -v[140:141]
	v_add_f64 v[142:143], v[138:139], -v[142:143]
	;; [unrolled: 3-line block ×5, first 2 shown]
	v_fma_f64 v[132:133], v[132:133], 2.0, -v[128:129]
	v_fma_f64 v[134:135], v[134:135], 2.0, -v[130:131]
	v_fma_f64 v[136:137], v[136:137], 2.0, -v[140:141]
	v_fma_f64 v[138:139], v[138:139], 2.0, -v[142:143]
	v_fma_f64 v[148:149], v[148:149], 2.0, -v[144:145]
	v_fma_f64 v[150:151], v[150:151], 2.0, -v[146:147]
	v_fma_f64 v[152:153], v[152:153], 2.0, -v[164:165]
	v_fma_f64 v[154:155], v[154:155], 2.0, -v[166:167]
	v_fma_f64 v[160:161], v[160:161], 2.0, -v[168:169]
	v_fma_f64 v[162:163], v[162:163], 2.0, -v[170:171]
	s_barrier
	ds_write_b128 v228, v[132:135]
	ds_write_b128 v228, v[128:131] offset:16
	ds_write_b128 v229, v[136:139]
	ds_write_b128 v229, v[140:143] offset:16
	;; [unrolled: 2-line block ×5, first 2 shown]
	s_waitcnt lgkmcnt(0)
	s_barrier
	ds_read_b128 v[128:131], v159 offset:7040
	ds_read_b128 v[132:135], v159
	ds_read_b128 v[136:139], v159 offset:1408
	ds_read_b128 v[140:143], v159 offset:8448
	;; [unrolled: 1-line block ×8, first 2 shown]
	s_waitcnt lgkmcnt(9)
	v_mul_f64 v[0:1], v[42:43], v[130:131]
	v_mul_f64 v[2:3], v[42:43], v[128:129]
	s_waitcnt lgkmcnt(5)
	v_mul_f64 v[8:9], v[42:43], v[146:147]
	v_mul_f64 v[10:11], v[42:43], v[144:145]
	s_waitcnt lgkmcnt(1)
	v_mul_f64 v[12:13], v[42:43], v[166:167]
	v_fmac_f64_e32 v[0:1], v[40:41], v[128:129]
	v_fma_f64 v[2:3], v[40:41], v[130:131], -v[2:3]
	v_mul_f64 v[4:5], v[42:43], v[142:143]
	v_mul_f64 v[6:7], v[42:43], v[140:141]
	v_fmac_f64_e32 v[8:9], v[40:41], v[144:145]
	v_fma_f64 v[10:11], v[40:41], v[146:147], -v[10:11]
	v_fmac_f64_e32 v[12:13], v[40:41], v[164:165]
	v_mul_f64 v[14:15], v[42:43], v[164:165]
	s_waitcnt lgkmcnt(0)
	v_mul_f64 v[164:165], v[42:43], v[170:171]
	v_mul_f64 v[42:43], v[42:43], v[168:169]
	v_fmac_f64_e32 v[4:5], v[40:41], v[140:141]
	v_fma_f64 v[6:7], v[40:41], v[142:143], -v[6:7]
	v_fma_f64 v[14:15], v[40:41], v[166:167], -v[14:15]
	v_fmac_f64_e32 v[164:165], v[40:41], v[168:169]
	v_fma_f64 v[166:167], v[40:41], v[170:171], -v[42:43]
	v_add_f64 v[40:41], v[132:133], -v[0:1]
	v_add_f64 v[42:43], v[134:135], -v[2:3]
	;; [unrolled: 1-line block ×4, first 2 shown]
	v_fma_f64 v[128:129], v[132:133], 2.0, -v[40:41]
	v_fma_f64 v[130:131], v[134:135], 2.0, -v[42:43]
	v_add_f64 v[132:133], v[136:137], -v[4:5]
	v_add_f64 v[134:135], v[138:139], -v[6:7]
	v_fma_f64 v[144:145], v[148:149], 2.0, -v[140:141]
	v_fma_f64 v[146:147], v[150:151], 2.0, -v[142:143]
	v_add_f64 v[148:149], v[152:153], -v[12:13]
	v_add_f64 v[150:151], v[154:155], -v[14:15]
	;; [unrolled: 1-line block ×4, first 2 shown]
	v_fma_f64 v[136:137], v[136:137], 2.0, -v[132:133]
	v_fma_f64 v[138:139], v[138:139], 2.0, -v[134:135]
	v_fma_f64 v[152:153], v[152:153], 2.0, -v[148:149]
	v_fma_f64 v[154:155], v[154:155], 2.0, -v[150:151]
	v_fma_f64 v[160:161], v[160:161], 2.0, -v[164:165]
	v_fma_f64 v[162:163], v[162:163], 2.0, -v[166:167]
	s_barrier
	ds_write_b128 v243, v[128:131]
	ds_write_b128 v243, v[40:43] offset:32
	ds_write_b128 v244, v[136:139]
	ds_write_b128 v244, v[132:135] offset:32
	;; [unrolled: 2-line block ×5, first 2 shown]
	s_waitcnt lgkmcnt(0)
	s_barrier
	ds_read_b128 v[40:43], v159 offset:7040
	ds_read_b128 v[128:131], v159
	ds_read_b128 v[132:135], v159 offset:1408
	ds_read_b128 v[136:139], v159 offset:8448
	;; [unrolled: 1-line block ×8, first 2 shown]
	s_waitcnt lgkmcnt(9)
	v_mul_f64 v[0:1], v[50:51], v[42:43]
	v_mul_f64 v[2:3], v[50:51], v[40:41]
	s_waitcnt lgkmcnt(5)
	v_mul_f64 v[8:9], v[50:51], v[142:143]
	v_mul_f64 v[10:11], v[50:51], v[140:141]
	s_waitcnt lgkmcnt(1)
	v_mul_f64 v[12:13], v[50:51], v[162:163]
	v_fmac_f64_e32 v[0:1], v[48:49], v[40:41]
	v_fma_f64 v[2:3], v[48:49], v[42:43], -v[2:3]
	v_mul_f64 v[4:5], v[50:51], v[138:139]
	v_mul_f64 v[6:7], v[50:51], v[136:137]
	v_fmac_f64_e32 v[8:9], v[48:49], v[140:141]
	v_fma_f64 v[10:11], v[48:49], v[142:143], -v[10:11]
	v_fmac_f64_e32 v[12:13], v[48:49], v[160:161]
	v_mul_f64 v[14:15], v[50:51], v[160:161]
	s_waitcnt lgkmcnt(0)
	v_mul_f64 v[160:161], v[50:51], v[166:167]
	v_mul_f64 v[40:41], v[50:51], v[164:165]
	v_fmac_f64_e32 v[4:5], v[48:49], v[136:137]
	v_fma_f64 v[6:7], v[48:49], v[138:139], -v[6:7]
	v_fma_f64 v[14:15], v[48:49], v[162:163], -v[14:15]
	v_fmac_f64_e32 v[160:161], v[48:49], v[164:165]
	v_fma_f64 v[162:163], v[48:49], v[166:167], -v[40:41]
	v_add_f64 v[40:41], v[128:129], -v[0:1]
	v_add_f64 v[42:43], v[130:131], -v[2:3]
	;; [unrolled: 1-line block ×4, first 2 shown]
	v_fma_f64 v[48:49], v[128:129], 2.0, -v[40:41]
	v_fma_f64 v[50:51], v[130:131], 2.0, -v[42:43]
	v_add_f64 v[128:129], v[132:133], -v[4:5]
	v_add_f64 v[130:131], v[134:135], -v[6:7]
	v_fma_f64 v[140:141], v[144:145], 2.0, -v[136:137]
	v_fma_f64 v[142:143], v[146:147], 2.0, -v[138:139]
	v_add_f64 v[144:145], v[148:149], -v[12:13]
	v_add_f64 v[146:147], v[150:151], -v[14:15]
	;; [unrolled: 1-line block ×4, first 2 shown]
	v_fma_f64 v[132:133], v[132:133], 2.0, -v[128:129]
	v_fma_f64 v[134:135], v[134:135], 2.0, -v[130:131]
	;; [unrolled: 1-line block ×6, first 2 shown]
	s_barrier
	ds_write_b128 v248, v[48:51]
	ds_write_b128 v248, v[40:43] offset:64
	ds_write_b128 v249, v[132:135]
	ds_write_b128 v249, v[128:131] offset:64
	;; [unrolled: 2-line block ×5, first 2 shown]
	s_waitcnt lgkmcnt(0)
	s_barrier
	ds_read_b128 v[40:43], v159 offset:7040
	ds_read_b128 v[128:131], v159
	ds_read_b128 v[132:135], v159 offset:1408
	ds_read_b128 v[48:51], v159 offset:8448
	;; [unrolled: 1-line block ×8, first 2 shown]
	s_waitcnt lgkmcnt(9)
	v_mul_f64 v[0:1], v[58:59], v[42:43]
	v_mul_f64 v[2:3], v[58:59], v[40:41]
	v_fmac_f64_e32 v[0:1], v[56:57], v[40:41]
	v_fma_f64 v[2:3], v[56:57], v[42:43], -v[2:3]
	s_waitcnt lgkmcnt(6)
	v_mul_f64 v[4:5], v[58:59], v[50:51]
	v_mul_f64 v[6:7], v[58:59], v[48:49]
	s_waitcnt lgkmcnt(5)
	v_mul_f64 v[8:9], v[58:59], v[138:139]
	v_mul_f64 v[10:11], v[58:59], v[136:137]
	v_fmac_f64_e32 v[4:5], v[56:57], v[48:49]
	v_fma_f64 v[6:7], v[56:57], v[50:51], -v[6:7]
	v_fmac_f64_e32 v[8:9], v[56:57], v[136:137]
	v_fma_f64 v[10:11], v[56:57], v[138:139], -v[10:11]
	s_waitcnt lgkmcnt(1)
	v_mul_f64 v[12:13], v[58:59], v[142:143]
	v_mul_f64 v[14:15], v[58:59], v[140:141]
	s_waitcnt lgkmcnt(0)
	v_mul_f64 v[136:137], v[58:59], v[154:155]
	v_mul_f64 v[40:41], v[58:59], v[152:153]
	v_add_f64 v[48:49], v[128:129], -v[0:1]
	v_add_f64 v[50:51], v[130:131], -v[2:3]
	v_fmac_f64_e32 v[12:13], v[56:57], v[140:141]
	v_fma_f64 v[14:15], v[56:57], v[142:143], -v[14:15]
	v_fmac_f64_e32 v[136:137], v[56:57], v[152:153]
	v_fma_f64 v[138:139], v[56:57], v[154:155], -v[40:41]
	v_fma_f64 v[40:41], v[128:129], 2.0, -v[48:49]
	v_fma_f64 v[42:43], v[130:131], 2.0, -v[50:51]
	v_add_f64 v[128:129], v[132:133], -v[4:5]
	v_add_f64 v[130:131], v[134:135], -v[6:7]
	v_add_f64 v[140:141], v[144:145], -v[8:9]
	v_add_f64 v[142:143], v[146:147], -v[10:11]
	v_fma_f64 v[56:57], v[132:133], 2.0, -v[128:129]
	v_fma_f64 v[58:59], v[134:135], 2.0, -v[130:131]
	;; [unrolled: 1-line block ×4, first 2 shown]
	v_add_f64 v[144:145], v[148:149], -v[12:13]
	v_add_f64 v[146:147], v[150:151], -v[14:15]
	;; [unrolled: 1-line block ×4, first 2 shown]
	v_fma_f64 v[152:153], v[148:149], 2.0, -v[144:145]
	v_fma_f64 v[154:155], v[150:151], 2.0, -v[146:147]
	v_fma_f64 v[148:149], v[160:161], 2.0, -v[136:137]
	v_fma_f64 v[150:151], v[162:163], 2.0, -v[138:139]
	s_barrier
	ds_write_b128 v253, v[40:43]
	ds_write_b128 v253, v[48:51] offset:128
	ds_write_b128 v254, v[56:59]
	ds_write_b128 v254, v[128:131] offset:128
	;; [unrolled: 2-line block ×5, first 2 shown]
	s_waitcnt lgkmcnt(0)
	s_barrier
	s_and_saveexec_b64 s[0:1], vcc
	s_cbranch_execz .LBB0_7
; %bb.6:
	ds_read_b128 v[40:43], v159
	ds_read_b128 v[48:51], v159 offset:1280
	ds_read_b128 v[56:59], v159 offset:2560
	;; [unrolled: 1-line block ×10, first 2 shown]
.LBB0_7:
	s_or_b64 exec, exec, s[0:1]
	v_add_u32_e32 v157, 0x580, v159
	s_waitcnt lgkmcnt(0)
	s_barrier
	s_and_saveexec_b64 s[0:1], vcc
	s_cbranch_execz .LBB0_9
; %bb.8:
	v_mul_f64 v[160:161], v[90:91], v[142:143]
	v_mul_f64 v[2:3], v[90:91], v[140:141]
	v_fmac_f64_e32 v[160:161], v[88:89], v[140:141]
	v_mul_f64 v[162:163], v[86:87], v[154:155]
	v_fma_f64 v[88:89], v[88:89], v[142:143], -v[2:3]
	v_mul_f64 v[2:3], v[86:87], v[152:153]
	v_fmac_f64_e32 v[162:163], v[84:85], v[152:153]
	v_fma_f64 v[90:91], v[84:85], v[154:155], -v[2:3]
	v_mul_f64 v[84:85], v[66:67], v[134:135]
	v_mul_f64 v[6:7], v[66:67], v[132:133]
	v_fmac_f64_e32 v[84:85], v[64:65], v[132:133]
	v_mul_f64 v[86:87], v[82:83], v[146:147]
	v_fma_f64 v[132:133], v[64:65], v[134:135], -v[6:7]
	v_mul_f64 v[6:7], v[82:83], v[144:145]
	v_fmac_f64_e32 v[86:87], v[80:81], v[144:145]
	v_fma_f64 v[66:67], v[80:81], v[146:147], -v[6:7]
	v_mul_f64 v[80:81], v[62:63], v[130:131]
	v_mul_f64 v[10:11], v[62:63], v[128:129]
	;; [unrolled: 1-line block ×3, first 2 shown]
	v_fmac_f64_e32 v[80:81], v[60:61], v[128:129]
	v_mul_f64 v[64:65], v[74:75], v[150:151]
	v_fma_f64 v[82:83], v[60:61], v[130:131], -v[10:11]
	v_mul_f64 v[10:11], v[74:75], v[148:149]
	v_mul_f64 v[60:61], v[78:79], v[138:139]
	v_fma_f64 v[128:129], v[52:53], v[58:59], -v[14:15]
	v_mul_f64 v[14:15], v[78:79], v[136:137]
	v_mul_f64 v[78:79], v[46:47], v[50:51]
	;; [unrolled: 1-line block ×4, first 2 shown]
	v_fmac_f64_e32 v[64:65], v[72:73], v[148:149]
	v_fma_f64 v[62:63], v[72:73], v[150:151], -v[10:11]
	v_mul_f64 v[72:73], v[54:55], v[58:59]
	v_fmac_f64_e32 v[60:61], v[76:77], v[136:137]
	v_fmac_f64_e32 v[78:79], v[44:45], v[48:49]
	;; [unrolled: 1-line block ×3, first 2 shown]
	s_mov_b32 s24, 0xfd768dbf
	v_fma_f64 v[136:137], v[44:45], v[50:51], -v[46:47]
	v_mul_f64 v[44:45], v[70:71], v[124:125]
	v_fmac_f64_e32 v[72:73], v[52:53], v[56:57]
	s_mov_b32 s26, 0xf8bb580b
	v_add_f64 v[154:155], v[78:79], -v[74:75]
	s_mov_b32 s25, 0xbfd207e7
	v_fma_f64 v[68:69], v[68:69], v[126:127], -v[44:45]
	s_mov_b32 s22, 0x9bcd5057
	s_mov_b32 s20, 0xbb3a28a1
	v_add_f64 v[146:147], v[72:73], -v[60:61]
	s_mov_b32 s27, 0x3fe14ced
	v_fma_f64 v[76:77], v[76:77], v[138:139], -v[14:15]
	s_mov_b32 s18, 0x8764f0ba
	v_mul_f64 v[52:53], v[154:155], s[24:25]
	v_add_f64 v[70:71], v[136:137], v[68:69]
	s_mov_b32 s23, 0xbfeeb42a
	v_add_f64 v[144:145], v[80:81], -v[64:65]
	s_mov_b32 s21, 0xbfe82f19
	s_mov_b32 s16, 0x7f775887
	v_mul_f64 v[12:13], v[146:147], s[26:27]
	v_add_f64 v[138:139], v[128:129], v[76:77]
	s_mov_b32 s19, 0x3feaeb8c
	v_fma_f64 v[44:45], s[22:23], v[70:71], v[52:53]
	v_add_f64 v[174:175], v[136:137], -v[68:69]
	s_mov_b32 s10, 0x43842ef
	v_add_f64 v[142:143], v[84:85], -v[86:87]
	s_mov_b32 s15, 0x3fed1bb4
	s_mov_b32 s14, 0x8eee2c13
	;; [unrolled: 1-line block ×3, first 2 shown]
	v_mul_f64 v[8:9], v[144:145], s[20:21]
	v_add_f64 v[130:131], v[82:83], v[62:63]
	s_mov_b32 s17, 0xbfe4f49e
	v_fma_f64 v[14:15], s[18:19], v[138:139], v[12:13]
	v_add_f64 v[44:45], v[42:43], v[44:45]
	v_add_f64 v[172:173], v[128:129], -v[76:77]
	v_add_f64 v[152:153], v[78:79], v[74:75]
	v_mul_f64 v[56:57], v[174:175], s[24:25]
	v_add_f64 v[164:165], v[160:161], -v[162:163]
	s_mov_b32 s11, 0xbfefac9e
	s_mov_b32 s8, 0x640f44db
	v_mul_f64 v[4:5], v[142:143], s[14:15]
	v_add_f64 v[134:135], v[132:133], v[66:67]
	s_mov_b32 s13, 0x3fda9628
	v_fma_f64 v[10:11], s[16:17], v[130:131], v[8:9]
	v_add_f64 v[14:15], v[14:15], v[44:45]
	v_add_f64 v[170:171], v[82:83], -v[62:63]
	v_add_f64 v[150:151], v[72:73], v[60:61]
	v_mul_f64 v[54:55], v[172:173], s[26:27]
	v_fma_f64 v[58:59], v[152:153], s[22:23], -v[56:57]
	v_mul_f64 v[0:1], v[164:165], s[10:11]
	v_add_f64 v[140:141], v[88:89], v[90:91]
	s_mov_b32 s9, 0xbfc2375f
	v_fma_f64 v[6:7], s[12:13], v[134:135], v[4:5]
	v_add_f64 v[10:11], v[10:11], v[14:15]
	v_add_f64 v[168:169], v[132:133], -v[66:67]
	v_add_f64 v[148:149], v[80:81], v[64:65]
	v_mul_f64 v[48:49], v[170:171], s[20:21]
	v_fma_f64 v[50:51], v[150:151], s[18:19], -v[54:55]
	v_add_f64 v[58:59], v[40:41], v[58:59]
	v_fma_f64 v[2:3], s[8:9], v[140:141], v[0:1]
	v_add_f64 v[6:7], v[6:7], v[10:11]
	v_add_f64 v[166:167], v[88:89], -v[90:91]
	v_add_f64 v[126:127], v[84:85], v[86:87]
	v_mul_f64 v[10:11], v[168:169], s[14:15]
	v_fma_f64 v[44:45], v[148:149], s[16:17], -v[48:49]
	v_add_f64 v[50:51], v[50:51], v[58:59]
	v_add_f64 v[46:47], v[2:3], v[6:7]
	;; [unrolled: 1-line block ×3, first 2 shown]
	v_mul_f64 v[2:3], v[166:167], s[10:11]
	v_fma_f64 v[14:15], v[126:127], s[12:13], -v[10:11]
	v_add_f64 v[44:45], v[44:45], v[50:51]
	v_fma_f64 v[6:7], v[124:125], s[8:9], -v[2:3]
	v_add_f64 v[14:15], v[14:15], v[44:45]
	v_add_f64 v[44:45], v[6:7], v[14:15]
	v_fma_f64 v[6:7], v[130:131], s[16:17], -v[8:9]
	v_fma_f64 v[8:9], v[138:139], s[18:19], -v[12:13]
	;; [unrolled: 1-line block ×3, first 2 shown]
	v_add_f64 v[12:13], v[42:43], v[12:13]
	v_add_f64 v[8:9], v[8:9], v[12:13]
	v_fma_f64 v[4:5], v[134:135], s[12:13], -v[4:5]
	v_add_f64 v[6:7], v[6:7], v[8:9]
	v_fma_f64 v[0:1], v[140:141], s[8:9], -v[0:1]
	v_add_f64 v[4:5], v[4:5], v[6:7]
	v_fmac_f64_e32 v[56:57], s[22:23], v[152:153]
	v_add_f64 v[50:51], v[0:1], v[4:5]
	v_fmac_f64_e32 v[54:55], s[18:19], v[150:151]
	v_add_f64 v[0:1], v[40:41], v[56:57]
	s_mov_b32 s31, 0x3fefac9e
	s_mov_b32 s30, s10
	v_mul_f64 v[56:57], v[154:155], s[20:21]
	v_fmac_f64_e32 v[48:49], s[16:17], v[148:149]
	v_add_f64 v[0:1], v[54:55], v[0:1]
	s_mov_b32 s29, 0xbfe14ced
	s_mov_b32 s28, s26
	v_mul_f64 v[12:13], v[146:147], s[30:31]
	v_fma_f64 v[52:53], s[16:17], v[70:71], v[56:57]
	v_fmac_f64_e32 v[10:11], s[12:13], v[126:127]
	v_add_f64 v[0:1], v[48:49], v[0:1]
	v_mul_f64 v[8:9], v[144:145], s[28:29]
	v_fma_f64 v[14:15], s[8:9], v[138:139], v[12:13]
	v_add_f64 v[52:53], v[42:43], v[52:53]
	v_mul_f64 v[182:183], v[174:175], s[20:21]
	v_fmac_f64_e32 v[2:3], s[8:9], v[124:125]
	v_add_f64 v[0:1], v[10:11], v[0:1]
	v_mul_f64 v[4:5], v[142:143], s[24:25]
	v_fma_f64 v[10:11], s[18:19], v[130:131], v[8:9]
	v_add_f64 v[14:15], v[14:15], v[52:53]
	v_mul_f64 v[180:181], v[172:173], s[30:31]
	v_fma_f64 v[184:185], v[152:153], s[16:17], -v[182:183]
	v_add_f64 v[48:49], v[2:3], v[0:1]
	v_mul_f64 v[0:1], v[164:165], s[14:15]
	v_fma_f64 v[6:7], s[22:23], v[134:135], v[4:5]
	v_add_f64 v[10:11], v[10:11], v[14:15]
	v_mul_f64 v[178:179], v[170:171], s[28:29]
	v_fma_f64 v[58:59], v[150:151], s[8:9], -v[180:181]
	v_add_f64 v[184:185], v[40:41], v[184:185]
	v_fma_f64 v[2:3], s[12:13], v[140:141], v[0:1]
	v_add_f64 v[6:7], v[6:7], v[10:11]
	v_mul_f64 v[10:11], v[168:169], s[24:25]
	v_fma_f64 v[52:53], v[148:149], s[18:19], -v[178:179]
	v_add_f64 v[58:59], v[58:59], v[184:185]
	v_add_f64 v[54:55], v[2:3], v[6:7]
	v_mul_f64 v[2:3], v[166:167], s[14:15]
	v_fma_f64 v[14:15], v[126:127], s[22:23], -v[10:11]
	v_add_f64 v[52:53], v[52:53], v[58:59]
	v_fma_f64 v[6:7], v[124:125], s[12:13], -v[2:3]
	v_add_f64 v[14:15], v[14:15], v[52:53]
	v_add_f64 v[52:53], v[6:7], v[14:15]
	v_fma_f64 v[6:7], v[130:131], s[18:19], -v[8:9]
	v_fma_f64 v[8:9], v[138:139], s[8:9], -v[12:13]
	;; [unrolled: 1-line block ×3, first 2 shown]
	v_add_f64 v[12:13], v[42:43], v[12:13]
	v_add_f64 v[8:9], v[8:9], v[12:13]
	v_fma_f64 v[4:5], v[134:135], s[22:23], -v[4:5]
	v_add_f64 v[6:7], v[6:7], v[8:9]
	v_fma_f64 v[0:1], v[140:141], s[12:13], -v[0:1]
	v_add_f64 v[4:5], v[4:5], v[6:7]
	v_fmac_f64_e32 v[182:183], s[16:17], v[152:153]
	v_add_f64 v[58:59], v[0:1], v[4:5]
	v_fmac_f64_e32 v[180:181], s[8:9], v[150:151]
	;; [unrolled: 2-line block ×3, first 2 shown]
	v_add_f64 v[0:1], v[180:181], v[0:1]
	s_mov_b32 s35, 0x3fd207e7
	s_mov_b32 s34, s24
	v_mul_f64 v[182:183], v[154:155], s[10:11]
	v_add_f64 v[0:1], v[178:179], v[0:1]
	v_mul_f64 v[12:13], v[146:147], s[34:35]
	v_fma_f64 v[178:179], s[8:9], v[70:71], v[182:183]
	v_fmac_f64_e32 v[10:11], s[22:23], v[126:127]
	v_mul_f64 v[8:9], v[144:145], s[14:15]
	v_fma_f64 v[14:15], s[22:23], v[138:139], v[12:13]
	v_add_f64 v[178:179], v[42:43], v[178:179]
	v_mul_f64 v[190:191], v[174:175], s[10:11]
	v_fmac_f64_e32 v[2:3], s[12:13], v[124:125]
	v_add_f64 v[0:1], v[10:11], v[0:1]
	v_mul_f64 v[4:5], v[142:143], s[28:29]
	v_fma_f64 v[10:11], s[12:13], v[130:131], v[8:9]
	v_add_f64 v[14:15], v[14:15], v[178:179]
	v_mul_f64 v[188:189], v[172:173], s[34:35]
	v_fma_f64 v[192:193], v[152:153], s[8:9], -v[190:191]
	v_add_f64 v[56:57], v[2:3], v[0:1]
	v_mul_f64 v[0:1], v[164:165], s[20:21]
	v_fma_f64 v[6:7], s[18:19], v[134:135], v[4:5]
	v_add_f64 v[10:11], v[10:11], v[14:15]
	v_mul_f64 v[186:187], v[170:171], s[14:15]
	v_fma_f64 v[184:185], v[150:151], s[22:23], -v[188:189]
	v_add_f64 v[192:193], v[40:41], v[192:193]
	v_fma_f64 v[2:3], s[16:17], v[140:141], v[0:1]
	v_add_f64 v[6:7], v[6:7], v[10:11]
	v_mul_f64 v[10:11], v[168:169], s[28:29]
	v_fma_f64 v[178:179], v[148:149], s[12:13], -v[186:187]
	v_add_f64 v[184:185], v[184:185], v[192:193]
	v_add_f64 v[180:181], v[2:3], v[6:7]
	v_mul_f64 v[2:3], v[166:167], s[20:21]
	v_fma_f64 v[14:15], v[126:127], s[18:19], -v[10:11]
	v_add_f64 v[178:179], v[178:179], v[184:185]
	v_fma_f64 v[6:7], v[124:125], s[16:17], -v[2:3]
	v_add_f64 v[14:15], v[14:15], v[178:179]
	v_add_f64 v[178:179], v[6:7], v[14:15]
	v_fma_f64 v[6:7], v[130:131], s[12:13], -v[8:9]
	v_fma_f64 v[8:9], v[138:139], s[22:23], -v[12:13]
	;; [unrolled: 1-line block ×3, first 2 shown]
	v_add_f64 v[12:13], v[42:43], v[12:13]
	v_add_f64 v[8:9], v[8:9], v[12:13]
	v_fma_f64 v[4:5], v[134:135], s[18:19], -v[4:5]
	v_add_f64 v[6:7], v[6:7], v[8:9]
	v_fma_f64 v[0:1], v[140:141], s[16:17], -v[0:1]
	v_add_f64 v[4:5], v[4:5], v[6:7]
	v_fmac_f64_e32 v[190:191], s[8:9], v[152:153]
	v_add_f64 v[184:185], v[0:1], v[4:5]
	v_fmac_f64_e32 v[188:189], s[22:23], v[150:151]
	v_add_f64 v[0:1], v[40:41], v[190:191]
	s_mov_b32 s15, 0xbfed1bb4
	v_fmac_f64_e32 v[186:187], s[12:13], v[148:149]
	v_add_f64 v[0:1], v[188:189], v[0:1]
	v_mul_f64 v[190:191], v[154:155], s[14:15]
	v_add_f64 v[0:1], v[186:187], v[0:1]
	v_mul_f64 v[12:13], v[146:147], s[20:21]
	v_fma_f64 v[186:187], s[12:13], v[70:71], v[190:191]
	v_fmac_f64_e32 v[10:11], s[18:19], v[126:127]
	v_mul_f64 v[8:9], v[144:145], s[34:35]
	v_fma_f64 v[14:15], s[16:17], v[138:139], v[12:13]
	v_add_f64 v[186:187], v[42:43], v[186:187]
	v_mul_f64 v[198:199], v[174:175], s[14:15]
	v_fmac_f64_e32 v[2:3], s[16:17], v[124:125]
	v_add_f64 v[0:1], v[10:11], v[0:1]
	v_mul_f64 v[4:5], v[142:143], s[30:31]
	v_fma_f64 v[10:11], s[22:23], v[130:131], v[8:9]
	v_add_f64 v[14:15], v[14:15], v[186:187]
	v_mul_f64 v[196:197], v[172:173], s[20:21]
	v_fma_f64 v[200:201], v[152:153], s[12:13], -v[198:199]
	v_add_f64 v[182:183], v[2:3], v[0:1]
	v_mul_f64 v[0:1], v[164:165], s[26:27]
	v_fma_f64 v[6:7], s[8:9], v[134:135], v[4:5]
	v_add_f64 v[10:11], v[10:11], v[14:15]
	v_mul_f64 v[194:195], v[170:171], s[34:35]
	v_fma_f64 v[192:193], v[150:151], s[16:17], -v[196:197]
	v_add_f64 v[200:201], v[40:41], v[200:201]
	v_fma_f64 v[2:3], s[18:19], v[140:141], v[0:1]
	v_add_f64 v[6:7], v[6:7], v[10:11]
	v_mul_f64 v[10:11], v[168:169], s[30:31]
	v_fma_f64 v[186:187], v[148:149], s[22:23], -v[194:195]
	v_add_f64 v[192:193], v[192:193], v[200:201]
	v_add_f64 v[188:189], v[2:3], v[6:7]
	v_mul_f64 v[2:3], v[166:167], s[26:27]
	v_fma_f64 v[14:15], v[126:127], s[8:9], -v[10:11]
	v_add_f64 v[186:187], v[186:187], v[192:193]
	v_fma_f64 v[6:7], v[124:125], s[18:19], -v[2:3]
	v_add_f64 v[14:15], v[14:15], v[186:187]
	v_add_f64 v[186:187], v[6:7], v[14:15]
	v_fma_f64 v[6:7], v[130:131], s[22:23], -v[8:9]
	v_fma_f64 v[8:9], v[138:139], s[16:17], -v[12:13]
	;; [unrolled: 1-line block ×3, first 2 shown]
	v_add_f64 v[12:13], v[42:43], v[12:13]
	v_add_f64 v[8:9], v[8:9], v[12:13]
	v_fma_f64 v[4:5], v[134:135], s[8:9], -v[4:5]
	v_add_f64 v[6:7], v[6:7], v[8:9]
	v_fma_f64 v[0:1], v[140:141], s[18:19], -v[0:1]
	v_add_f64 v[4:5], v[4:5], v[6:7]
	v_fmac_f64_e32 v[198:199], s[12:13], v[152:153]
	v_add_f64 v[192:193], v[0:1], v[4:5]
	v_fmac_f64_e32 v[196:197], s[16:17], v[150:151]
	v_add_f64 v[0:1], v[40:41], v[198:199]
	v_mul_f64 v[12:13], v[146:147], s[14:15]
	v_mul_f64 v[146:147], v[154:155], s[28:29]
	v_fmac_f64_e32 v[194:195], s[22:23], v[148:149]
	v_add_f64 v[0:1], v[196:197], v[0:1]
	v_mul_f64 v[4:5], v[142:143], s[20:21]
	v_fma_f64 v[142:143], s[18:19], v[70:71], v[146:147]
	v_fmac_f64_e32 v[10:11], s[8:9], v[126:127]
	v_add_f64 v[0:1], v[194:195], v[0:1]
	v_mul_f64 v[8:9], v[144:145], s[10:11]
	v_fma_f64 v[14:15], s[12:13], v[138:139], v[12:13]
	v_add_f64 v[142:143], v[42:43], v[142:143]
	v_add_f64 v[0:1], v[10:11], v[0:1]
	v_fma_f64 v[10:11], s[8:9], v[130:131], v[8:9]
	v_add_f64 v[14:15], v[14:15], v[142:143]
	v_fmac_f64_e32 v[2:3], s[18:19], v[124:125]
	v_fma_f64 v[6:7], s[16:17], v[134:135], v[4:5]
	v_add_f64 v[10:11], v[10:11], v[14:15]
	v_add_f64 v[190:191], v[2:3], v[0:1]
	v_mul_f64 v[0:1], v[164:165], s[24:25]
	v_add_f64 v[6:7], v[6:7], v[10:11]
	v_mul_f64 v[10:11], v[168:169], s[20:21]
	v_mul_f64 v[168:169], v[174:175], s[28:29]
	v_fma_f64 v[2:3], s[22:23], v[140:141], v[0:1]
	v_mul_f64 v[154:155], v[170:171], s[10:11]
	v_mul_f64 v[164:165], v[172:173], s[14:15]
	v_fma_f64 v[170:171], v[152:153], s[18:19], -v[168:169]
	v_add_f64 v[144:145], v[2:3], v[6:7]
	v_mul_f64 v[2:3], v[166:167], s[24:25]
	v_fma_f64 v[166:167], v[150:151], s[12:13], -v[164:165]
	v_add_f64 v[170:171], v[40:41], v[170:171]
	v_fma_f64 v[142:143], v[148:149], s[8:9], -v[154:155]
	v_add_f64 v[166:167], v[166:167], v[170:171]
	;; [unrolled: 2-line block ×4, first 2 shown]
	v_add_f64 v[142:143], v[6:7], v[14:15]
	v_fma_f64 v[6:7], v[130:131], s[8:9], -v[8:9]
	v_fma_f64 v[8:9], v[138:139], s[12:13], -v[12:13]
	v_fma_f64 v[12:13], v[70:71], s[18:19], -v[146:147]
	v_add_f64 v[12:13], v[42:43], v[12:13]
	v_add_f64 v[8:9], v[8:9], v[12:13]
	v_fma_f64 v[4:5], v[134:135], s[16:17], -v[4:5]
	v_add_f64 v[6:7], v[6:7], v[8:9]
	v_fma_f64 v[0:1], v[140:141], s[22:23], -v[0:1]
	v_add_f64 v[4:5], v[4:5], v[6:7]
	v_fmac_f64_e32 v[168:169], s[18:19], v[152:153]
	v_add_f64 v[140:141], v[0:1], v[4:5]
	v_fmac_f64_e32 v[164:165], s[12:13], v[150:151]
	;; [unrolled: 2-line block ×5, first 2 shown]
	v_add_f64 v[0:1], v[10:11], v[0:1]
	v_add_f64 v[138:139], v[2:3], v[0:1]
	;; [unrolled: 1-line block ×22, first 2 shown]
	v_mul_u32_u24_e32 v0, 0xb0, v203
	v_or_b32_e32 v0, v0, v202
	v_lshl_add_u32 v0, v0, 4, v238
	ds_write_b128 v0, v[40:43]
	ds_write_b128 v0, v[138:141] offset:256
	ds_write_b128 v0, v[190:193] offset:512
	;; [unrolled: 1-line block ×10, first 2 shown]
.LBB0_9:
	s_or_b64 exec, exec, s[0:1]
	s_waitcnt lgkmcnt(0)
	s_barrier
	ds_read_b128 v[40:43], v159
	ds_read_b128 v[44:47], v159 offset:1408
	ds_read_b128 v[54:57], v159 offset:2816
	;; [unrolled: 1-line block ×9, first 2 shown]
	s_waitcnt lgkmcnt(5)
	v_mul_f64 v[4:5], v[102:103], v[64:65]
	s_waitcnt lgkmcnt(3)
	v_mul_f64 v[8:9], v[98:99], v[72:73]
	v_mul_f64 v[2:3], v[106:107], v[54:55]
	v_fmac_f64_e32 v[4:5], v[100:101], v[62:63]
	v_fmac_f64_e32 v[8:9], v[96:97], v[70:71]
	s_waitcnt lgkmcnt(1)
	v_mul_f64 v[14:15], v[94:95], v[78:79]
	v_mov_b32_e32 v48, s2
	v_mov_b32_e32 v49, s3
	v_mad_u64_u32 v[50:51], s[0:1], s6, v158, 0
	v_mul_f64 v[0:1], v[106:107], v[56:57]
	v_fma_f64 v[2:3], v[104:105], v[56:57], -v[2:3]
	v_mul_f64 v[6:7], v[102:103], v[62:63]
	v_mul_f64 v[10:11], v[98:99], v[70:71]
	;; [unrolled: 1-line block ×3, first 2 shown]
	v_fma_f64 v[14:15], v[92:93], v[80:81], -v[14:15]
	v_mul_f64 v[80:81], v[122:123], v[60:61]
	v_add_f64 v[56:57], v[4:5], v[8:9]
	s_mov_b32 s2, 0x134454ff
	v_fmac_f64_e32 v[0:1], v[104:105], v[54:55]
	v_fma_f64 v[6:7], v[100:101], v[64:65], -v[6:7]
	v_fma_f64 v[10:11], v[96:97], v[72:73], -v[10:11]
	v_fmac_f64_e32 v[12:13], v[92:93], v[78:79]
	v_fmac_f64_e32 v[80:81], v[120:121], v[58:59]
	v_mul_f64 v[54:55], v[122:123], v[58:59]
	v_mul_f64 v[88:89], v[118:119], v[68:69]
	v_fma_f64 v[58:59], -0.5, v[56:57], v[40:41]
	v_add_f64 v[56:57], v[2:3], -v[14:15]
	s_mov_b32 s3, 0xbfee6f0e
	s_mov_b32 s0, 0x4755a5e
	;; [unrolled: 1-line block ×4, first 2 shown]
	v_fma_f64 v[86:87], v[120:121], v[60:61], -v[54:55]
	v_fmac_f64_e32 v[88:89], v[116:117], v[66:67]
	v_mul_f64 v[54:55], v[118:119], v[66:67]
	v_fma_f64 v[62:63], s[2:3], v[56:57], v[58:59]
	v_add_f64 v[60:61], v[6:7], -v[10:11]
	s_mov_b32 s1, 0xbfe2cf23
	v_add_f64 v[64:65], v[0:1], -v[4:5]
	v_add_f64 v[66:67], v[12:13], -v[8:9]
	s_mov_b32 s8, 0x372fe950
	v_fmac_f64_e32 v[58:59], s[10:11], v[56:57]
	s_mov_b32 s13, 0x3fe2cf23
	s_mov_b32 s12, s0
	v_fma_f64 v[90:91], v[116:117], v[68:69], -v[54:55]
	v_mul_f64 v[54:55], v[114:115], v[74:75]
	v_fmac_f64_e32 v[62:63], s[0:1], v[60:61]
	v_add_f64 v[64:65], v[64:65], v[66:67]
	s_mov_b32 s9, 0x3fd3c6ef
	v_fmac_f64_e32 v[58:59], s[12:13], v[60:61]
	v_fma_f64 v[94:95], v[112:113], v[76:77], -v[54:55]
	s_waitcnt lgkmcnt(0)
	v_mul_f64 v[54:55], v[110:111], v[82:83]
	v_fmac_f64_e32 v[62:63], s[8:9], v[64:65]
	v_fmac_f64_e32 v[58:59], s[8:9], v[64:65]
	v_add_f64 v[64:65], v[0:1], v[12:13]
	v_fma_f64 v[98:99], v[108:109], v[84:85], -v[54:55]
	v_add_f64 v[54:55], v[40:41], v[0:1]
	v_fmac_f64_e32 v[40:41], -0.5, v[64:65]
	v_add_f64 v[54:55], v[54:55], v[4:5]
	v_fma_f64 v[66:67], s[10:11], v[60:61], v[40:41]
	v_add_f64 v[64:65], v[4:5], -v[0:1]
	v_add_f64 v[68:69], v[8:9], -v[12:13]
	v_fmac_f64_e32 v[40:41], s[2:3], v[60:61]
	v_add_f64 v[60:61], v[6:7], v[10:11]
	v_add_f64 v[54:55], v[54:55], v[8:9]
	v_fmac_f64_e32 v[66:67], s[0:1], v[56:57]
	v_add_f64 v[64:65], v[64:65], v[68:69]
	v_fmac_f64_e32 v[40:41], s[12:13], v[56:57]
	v_fma_f64 v[60:61], -0.5, v[60:61], v[42:43]
	v_add_f64 v[0:1], v[0:1], -v[12:13]
	v_add_f64 v[54:55], v[54:55], v[12:13]
	v_fmac_f64_e32 v[66:67], s[8:9], v[64:65]
	v_fmac_f64_e32 v[40:41], s[8:9], v[64:65]
	v_fma_f64 v[64:65], s[10:11], v[0:1], v[60:61]
	v_add_f64 v[4:5], v[4:5], -v[8:9]
	v_add_f64 v[8:9], v[2:3], -v[6:7]
	;; [unrolled: 1-line block ×3, first 2 shown]
	v_fmac_f64_e32 v[60:61], s[2:3], v[0:1]
	v_fmac_f64_e32 v[64:65], s[12:13], v[4:5]
	v_add_f64 v[8:9], v[8:9], v[12:13]
	v_fmac_f64_e32 v[60:61], s[0:1], v[4:5]
	v_fmac_f64_e32 v[64:65], s[8:9], v[8:9]
	;; [unrolled: 1-line block ×3, first 2 shown]
	v_add_f64 v[8:9], v[2:3], v[14:15]
	v_add_f64 v[56:57], v[42:43], v[2:3]
	v_fmac_f64_e32 v[42:43], -0.5, v[8:9]
	v_fma_f64 v[68:69], s[2:3], v[4:5], v[42:43]
	v_fmac_f64_e32 v[42:43], s[10:11], v[4:5]
	v_mul_f64 v[92:93], v[114:115], v[76:77]
	v_fmac_f64_e32 v[68:69], s[12:13], v[0:1]
	v_fmac_f64_e32 v[42:43], s[0:1], v[0:1]
	v_add_f64 v[0:1], v[44:45], v[80:81]
	v_fmac_f64_e32 v[92:93], v[112:113], v[74:75]
	v_mul_f64 v[96:97], v[110:111], v[84:85]
	v_add_f64 v[0:1], v[0:1], v[88:89]
	v_fmac_f64_e32 v[96:97], v[108:109], v[82:83]
	v_add_f64 v[0:1], v[0:1], v[92:93]
	v_add_f64 v[56:57], v[56:57], v[6:7]
	v_add_f64 v[2:3], v[6:7], -v[2:3]
	v_add_f64 v[6:7], v[10:11], -v[14:15]
	v_add_f64 v[70:71], v[0:1], v[96:97]
	v_add_f64 v[0:1], v[88:89], v[92:93]
	;; [unrolled: 1-line block ×3, first 2 shown]
	v_fma_f64 v[74:75], -0.5, v[0:1], v[44:45]
	v_add_f64 v[0:1], v[86:87], -v[98:99]
	v_fmac_f64_e32 v[68:69], s[8:9], v[2:3]
	v_fmac_f64_e32 v[42:43], s[8:9], v[2:3]
	v_fma_f64 v[78:79], s[2:3], v[0:1], v[74:75]
	v_add_f64 v[2:3], v[90:91], -v[94:95]
	v_add_f64 v[4:5], v[80:81], -v[88:89]
	;; [unrolled: 1-line block ×3, first 2 shown]
	v_fmac_f64_e32 v[74:75], s[10:11], v[0:1]
	v_fmac_f64_e32 v[78:79], s[0:1], v[2:3]
	v_add_f64 v[4:5], v[4:5], v[6:7]
	v_fmac_f64_e32 v[74:75], s[12:13], v[2:3]
	v_fmac_f64_e32 v[78:79], s[8:9], v[4:5]
	v_fmac_f64_e32 v[74:75], s[8:9], v[4:5]
	v_add_f64 v[4:5], v[80:81], v[96:97]
	v_fmac_f64_e32 v[44:45], -0.5, v[4:5]
	v_fma_f64 v[82:83], s[10:11], v[2:3], v[44:45]
	v_fmac_f64_e32 v[44:45], s[2:3], v[2:3]
	v_fmac_f64_e32 v[82:83], s[0:1], v[0:1]
	;; [unrolled: 1-line block ×3, first 2 shown]
	v_add_f64 v[0:1], v[46:47], v[86:87]
	v_add_f64 v[0:1], v[0:1], v[90:91]
	;; [unrolled: 1-line block ×3, first 2 shown]
	v_add_f64 v[4:5], v[88:89], -v[80:81]
	v_add_f64 v[6:7], v[92:93], -v[96:97]
	v_add_f64 v[72:73], v[0:1], v[98:99]
	v_add_f64 v[0:1], v[90:91], v[94:95]
	;; [unrolled: 1-line block ×3, first 2 shown]
	v_fma_f64 v[76:77], -0.5, v[0:1], v[46:47]
	v_add_f64 v[0:1], v[80:81], -v[96:97]
	v_fmac_f64_e32 v[82:83], s[8:9], v[4:5]
	v_fmac_f64_e32 v[44:45], s[8:9], v[4:5]
	v_fma_f64 v[80:81], s[10:11], v[0:1], v[76:77]
	v_add_f64 v[2:3], v[88:89], -v[92:93]
	v_add_f64 v[4:5], v[86:87], -v[90:91]
	;; [unrolled: 1-line block ×3, first 2 shown]
	v_fmac_f64_e32 v[76:77], s[2:3], v[0:1]
	v_fmac_f64_e32 v[80:81], s[12:13], v[2:3]
	v_add_f64 v[4:5], v[4:5], v[6:7]
	v_fmac_f64_e32 v[76:77], s[0:1], v[2:3]
	v_fmac_f64_e32 v[80:81], s[8:9], v[4:5]
	;; [unrolled: 1-line block ×3, first 2 shown]
	v_add_f64 v[4:5], v[86:87], v[98:99]
	v_fmac_f64_e32 v[46:47], -0.5, v[4:5]
	v_add_f64 v[56:57], v[56:57], v[10:11]
	v_fma_f64 v[84:85], s[2:3], v[2:3], v[46:47]
	v_add_f64 v[4:5], v[90:91], -v[86:87]
	v_add_f64 v[6:7], v[94:95], -v[98:99]
	v_fmac_f64_e32 v[46:47], s[10:11], v[2:3]
	v_add_f64 v[56:57], v[56:57], v[14:15]
	v_fmac_f64_e32 v[84:85], s[12:13], v[0:1]
	v_add_f64 v[4:5], v[4:5], v[6:7]
	v_fmac_f64_e32 v[46:47], s[0:1], v[0:1]
	v_fmac_f64_e32 v[84:85], s[8:9], v[4:5]
	v_fmac_f64_e32 v[46:47], s[8:9], v[4:5]
	ds_write_b128 v159, v[54:57]
	ds_write_b128 v159, v[62:65] offset:2816
	ds_write_b128 v159, v[66:69] offset:5632
	;; [unrolled: 1-line block ×9, first 2 shown]
	s_waitcnt lgkmcnt(0)
	s_barrier
	ds_read_b128 v[40:43], v159
	ds_read_b128 v[44:47], v159 offset:1408
	v_mov_b32_e32 v52, v51
	v_mad_u64_u32 v[0:1], s[0:1], s7, v158, v[52:53]
	v_mov_b32_e32 v51, v0
	s_waitcnt lgkmcnt(1)
	v_mul_f64 v[0:1], v[26:27], v[42:43]
	s_mov_b32 s0, 0x29e4129e
	v_fmac_f64_e32 v[0:1], v[24:25], v[40:41]
	s_mov_b32 s1, 0x3f529e41
	v_mul_f64 v[52:53], v[0:1], s[0:1]
	v_mul_f64 v[0:1], v[26:27], v[40:41]
	v_fma_f64 v[0:1], v[24:25], v[42:43], -v[0:1]
	ds_read_b128 v[24:27], v159 offset:7040
	ds_read_b128 v[40:43], v159 offset:5632
	v_mul_f64 v[54:55], v[0:1], s[0:1]
	v_mad_u64_u32 v[0:1], s[2:3], s4, v156, 0
	v_mov_b32_e32 v2, v1
	v_mad_u64_u32 v[2:3], s[2:3], s5, v156, v[2:3]
	v_mov_b32_e32 v1, v2
	v_lshl_add_u64 v[2:3], v[50:51], 4, v[48:49]
	v_lshl_add_u64 v[0:1], v[0:1], 4, v[2:3]
	s_waitcnt lgkmcnt(1)
	v_mul_f64 v[2:3], v[210:211], v[26:27]
	v_fmac_f64_e32 v[2:3], v[208:209], v[24:25]
	global_store_dwordx4 v[0:1], v[52:55], off
	v_mul_f64 v[48:49], v[2:3], s[0:1]
	v_mul_f64 v[2:3], v[210:211], v[24:25]
	v_mov_b32_e32 v52, 0x1b80
	v_fma_f64 v[2:3], v[208:209], v[26:27], -v[2:3]
	v_mad_u64_u32 v[4:5], s[2:3], s4, v52, v[0:1]
	s_mul_i32 s6, s5, 0x1b80
	v_mul_f64 v[0:1], v[222:223], v[46:47]
	v_mul_f64 v[50:51], v[2:3], s[0:1]
	v_add_u32_e32 v5, s6, v5
	v_fmac_f64_e32 v[0:1], v[220:221], v[44:45]
	v_mul_f64 v[2:3], v[222:223], v[44:45]
	v_mov_b32_e32 v44, 0xffffea00
	global_store_dwordx4 v[4:5], v[48:51], off
	v_mad_u64_u32 v[8:9], s[2:3], s4, v44, v[4:5]
	ds_read_b128 v[4:7], v159 offset:8448
	s_mul_i32 s2, s5, 0xffffea00
	v_fma_f64 v[2:3], v[220:221], v[46:47], -v[2:3]
	s_sub_i32 s5, s2, s4
	v_mul_f64 v[0:1], v[0:1], s[0:1]
	v_mul_f64 v[2:3], v[2:3], s[0:1]
	v_add_u32_e32 v9, s5, v9
	global_store_dwordx4 v[8:9], v[0:3], off
	ds_read_b128 v[0:3], v159 offset:9856
	s_waitcnt lgkmcnt(1)
	v_mul_f64 v[10:11], v[226:227], v[6:7]
	v_fmac_f64_e32 v[10:11], v[224:225], v[4:5]
	v_mul_f64 v[4:5], v[226:227], v[4:5]
	v_fma_f64 v[4:5], v[224:225], v[6:7], -v[4:5]
	v_mul_f64 v[26:27], v[4:5], s[0:1]
	ds_read_b128 v[4:7], v159 offset:2816
	v_mul_f64 v[24:25], v[10:11], s[0:1]
	v_mad_u64_u32 v[12:13], s[2:3], s4, v52, v[8:9]
	ds_read_b128 v[8:11], v159 offset:4224
	s_waitcnt lgkmcnt(1)
	v_mul_f64 v[14:15], v[218:219], v[6:7]
	v_fmac_f64_e32 v[14:15], v[216:217], v[4:5]
	v_mul_f64 v[4:5], v[218:219], v[4:5]
	v_add_u32_e32 v13, s6, v13
	v_fma_f64 v[4:5], v[216:217], v[6:7], -v[4:5]
	global_store_dwordx4 v[12:13], v[24:27], off
	v_mad_u64_u32 v[12:13], s[2:3], s4, v44, v[12:13]
	s_nop 0
	v_mul_f64 v[26:27], v[4:5], s[0:1]
	v_mul_f64 v[4:5], v[30:31], v[2:3]
	;; [unrolled: 1-line block ×3, first 2 shown]
	v_add_u32_e32 v13, s5, v13
	v_fmac_f64_e32 v[4:5], v[28:29], v[0:1]
	v_mul_f64 v[0:1], v[30:31], v[0:1]
	global_store_dwordx4 v[12:13], v[24:27], off
	v_fma_f64 v[0:1], v[28:29], v[2:3], -v[0:1]
	v_mad_u64_u32 v[12:13], s[2:3], s4, v52, v[12:13]
	v_mul_f64 v[4:5], v[4:5], s[0:1]
	v_mul_f64 v[6:7], v[0:1], s[0:1]
	v_add_u32_e32 v13, s6, v13
	global_store_dwordx4 v[12:13], v[4:7], off
	ds_read_b128 v[4:7], v159 offset:11264
	s_waitcnt lgkmcnt(1)
	v_mul_f64 v[0:1], v[22:23], v[10:11]
	v_mul_f64 v[2:3], v[22:23], v[8:9]
	v_fmac_f64_e32 v[0:1], v[20:21], v[8:9]
	v_fma_f64 v[2:3], v[20:21], v[10:11], -v[2:3]
	v_mad_u64_u32 v[12:13], s[2:3], s4, v44, v[12:13]
	v_mul_f64 v[0:1], v[0:1], s[0:1]
	v_mul_f64 v[2:3], v[2:3], s[0:1]
	v_add_u32_e32 v13, s5, v13
	global_store_dwordx4 v[12:13], v[0:3], off
	ds_read_b128 v[0:3], v159 offset:12672
	s_waitcnt lgkmcnt(1)
	v_mul_f64 v[8:9], v[18:19], v[6:7]
	v_fmac_f64_e32 v[8:9], v[16:17], v[4:5]
	v_mul_f64 v[4:5], v[18:19], v[4:5]
	v_fma_f64 v[4:5], v[16:17], v[6:7], -v[4:5]
	v_mad_u64_u32 v[12:13], s[2:3], s4, v52, v[12:13]
	v_mul_f64 v[8:9], v[8:9], s[0:1]
	v_mul_f64 v[10:11], v[4:5], s[0:1]
	v_add_u32_e32 v13, s6, v13
	v_mul_f64 v[4:5], v[34:35], v[42:43]
	v_mul_f64 v[6:7], v[34:35], v[40:41]
	global_store_dwordx4 v[12:13], v[8:11], off
	v_fmac_f64_e32 v[4:5], v[32:33], v[40:41]
	v_fma_f64 v[6:7], v[32:33], v[42:43], -v[6:7]
	v_mad_u64_u32 v[8:9], s[2:3], s4, v44, v[12:13]
	v_mul_f64 v[4:5], v[4:5], s[0:1]
	v_mul_f64 v[6:7], v[6:7], s[0:1]
	v_add_u32_e32 v9, s5, v9
	global_store_dwordx4 v[8:9], v[4:7], off
	s_waitcnt lgkmcnt(0)
	s_nop 0
	v_mul_f64 v[4:5], v[38:39], v[2:3]
	v_fmac_f64_e32 v[4:5], v[36:37], v[0:1]
	v_mul_f64 v[0:1], v[38:39], v[0:1]
	v_fma_f64 v[0:1], v[36:37], v[2:3], -v[0:1]
	v_mul_f64 v[4:5], v[4:5], s[0:1]
	v_mul_f64 v[6:7], v[0:1], s[0:1]
	v_mad_u64_u32 v[0:1], s[0:1], s4, v52, v[8:9]
	v_add_u32_e32 v1, s6, v1
	global_store_dwordx4 v[0:1], v[4:7], off
.LBB0_10:
	s_endpgm
	.section	.rodata,"a",@progbits
	.p2align	6, 0x0
	.amdhsa_kernel bluestein_single_fwd_len880_dim1_dp_op_CI_CI
		.amdhsa_group_segment_fixed_size 28160
		.amdhsa_private_segment_fixed_size 0
		.amdhsa_kernarg_size 104
		.amdhsa_user_sgpr_count 2
		.amdhsa_user_sgpr_dispatch_ptr 0
		.amdhsa_user_sgpr_queue_ptr 0
		.amdhsa_user_sgpr_kernarg_segment_ptr 1
		.amdhsa_user_sgpr_dispatch_id 0
		.amdhsa_user_sgpr_kernarg_preload_length 0
		.amdhsa_user_sgpr_kernarg_preload_offset 0
		.amdhsa_user_sgpr_private_segment_size 0
		.amdhsa_uses_dynamic_stack 0
		.amdhsa_enable_private_segment 0
		.amdhsa_system_sgpr_workgroup_id_x 1
		.amdhsa_system_sgpr_workgroup_id_y 0
		.amdhsa_system_sgpr_workgroup_id_z 0
		.amdhsa_system_sgpr_workgroup_info 0
		.amdhsa_system_vgpr_workitem_id 0
		.amdhsa_next_free_vgpr 296
		.amdhsa_next_free_sgpr 44
		.amdhsa_accum_offset 256
		.amdhsa_reserve_vcc 1
		.amdhsa_float_round_mode_32 0
		.amdhsa_float_round_mode_16_64 0
		.amdhsa_float_denorm_mode_32 3
		.amdhsa_float_denorm_mode_16_64 3
		.amdhsa_dx10_clamp 1
		.amdhsa_ieee_mode 1
		.amdhsa_fp16_overflow 0
		.amdhsa_tg_split 0
		.amdhsa_exception_fp_ieee_invalid_op 0
		.amdhsa_exception_fp_denorm_src 0
		.amdhsa_exception_fp_ieee_div_zero 0
		.amdhsa_exception_fp_ieee_overflow 0
		.amdhsa_exception_fp_ieee_underflow 0
		.amdhsa_exception_fp_ieee_inexact 0
		.amdhsa_exception_int_div_zero 0
	.end_amdhsa_kernel
	.text
.Lfunc_end0:
	.size	bluestein_single_fwd_len880_dim1_dp_op_CI_CI, .Lfunc_end0-bluestein_single_fwd_len880_dim1_dp_op_CI_CI
                                        ; -- End function
	.section	.AMDGPU.csdata,"",@progbits
; Kernel info:
; codeLenInByte = 15876
; NumSgprs: 50
; NumVgprs: 256
; NumAgprs: 40
; TotalNumVgprs: 296
; ScratchSize: 0
; MemoryBound: 0
; FloatMode: 240
; IeeeMode: 1
; LDSByteSize: 28160 bytes/workgroup (compile time only)
; SGPRBlocks: 6
; VGPRBlocks: 36
; NumSGPRsForWavesPerEU: 50
; NumVGPRsForWavesPerEU: 296
; AccumOffset: 256
; Occupancy: 1
; WaveLimiterHint : 1
; COMPUTE_PGM_RSRC2:SCRATCH_EN: 0
; COMPUTE_PGM_RSRC2:USER_SGPR: 2
; COMPUTE_PGM_RSRC2:TRAP_HANDLER: 0
; COMPUTE_PGM_RSRC2:TGID_X_EN: 1
; COMPUTE_PGM_RSRC2:TGID_Y_EN: 0
; COMPUTE_PGM_RSRC2:TGID_Z_EN: 0
; COMPUTE_PGM_RSRC2:TIDIG_COMP_CNT: 0
; COMPUTE_PGM_RSRC3_GFX90A:ACCUM_OFFSET: 63
; COMPUTE_PGM_RSRC3_GFX90A:TG_SPLIT: 0
	.text
	.p2alignl 6, 3212836864
	.fill 256, 4, 3212836864
	.type	__hip_cuid_4939838dec081037,@object ; @__hip_cuid_4939838dec081037
	.section	.bss,"aw",@nobits
	.globl	__hip_cuid_4939838dec081037
__hip_cuid_4939838dec081037:
	.byte	0                               ; 0x0
	.size	__hip_cuid_4939838dec081037, 1

	.ident	"AMD clang version 19.0.0git (https://github.com/RadeonOpenCompute/llvm-project roc-6.4.0 25133 c7fe45cf4b819c5991fe208aaa96edf142730f1d)"
	.section	".note.GNU-stack","",@progbits
	.addrsig
	.addrsig_sym __hip_cuid_4939838dec081037
	.amdgpu_metadata
---
amdhsa.kernels:
  - .agpr_count:     40
    .args:
      - .actual_access:  read_only
        .address_space:  global
        .offset:         0
        .size:           8
        .value_kind:     global_buffer
      - .actual_access:  read_only
        .address_space:  global
        .offset:         8
        .size:           8
        .value_kind:     global_buffer
      - .actual_access:  read_only
        .address_space:  global
        .offset:         16
        .size:           8
        .value_kind:     global_buffer
      - .actual_access:  read_only
        .address_space:  global
        .offset:         24
        .size:           8
        .value_kind:     global_buffer
      - .actual_access:  read_only
        .address_space:  global
        .offset:         32
        .size:           8
        .value_kind:     global_buffer
      - .offset:         40
        .size:           8
        .value_kind:     by_value
      - .address_space:  global
        .offset:         48
        .size:           8
        .value_kind:     global_buffer
      - .address_space:  global
        .offset:         56
        .size:           8
        .value_kind:     global_buffer
      - .address_space:  global
        .offset:         64
        .size:           8
        .value_kind:     global_buffer
      - .address_space:  global
        .offset:         72
        .size:           8
        .value_kind:     global_buffer
      - .offset:         80
        .size:           4
        .value_kind:     by_value
      - .address_space:  global
        .offset:         88
        .size:           8
        .value_kind:     global_buffer
      - .address_space:  global
        .offset:         96
        .size:           8
        .value_kind:     global_buffer
    .group_segment_fixed_size: 28160
    .kernarg_segment_align: 8
    .kernarg_segment_size: 104
    .language:       OpenCL C
    .language_version:
      - 2
      - 0
    .max_flat_workgroup_size: 176
    .name:           bluestein_single_fwd_len880_dim1_dp_op_CI_CI
    .private_segment_fixed_size: 0
    .sgpr_count:     50
    .sgpr_spill_count: 0
    .symbol:         bluestein_single_fwd_len880_dim1_dp_op_CI_CI.kd
    .uniform_work_group_size: 1
    .uses_dynamic_stack: false
    .vgpr_count:     296
    .vgpr_spill_count: 0
    .wavefront_size: 64
amdhsa.target:   amdgcn-amd-amdhsa--gfx950
amdhsa.version:
  - 1
  - 2
...

	.end_amdgpu_metadata
